;; amdgpu-corpus repo=zjin-lcf/HeCBench kind=compiled arch=gfx1250 opt=O3
	.amdgcn_target "amdgcn-amd-amdhsa--gfx1250"
	.amdhsa_code_object_version 6
	.text
	.protected	_Z18bond_wlcpowallviscPdS_S_PK15HIP_vector_typeIfLj4EES3_PKiPKS0_IiLj2EEPKdPKfSC_SC_SC_SC_SC_SC_SC_S0_IfLj3EEiii ; -- Begin function _Z18bond_wlcpowallviscPdS_S_PK15HIP_vector_typeIfLj4EES3_PKiPKS0_IiLj2EEPKdPKfSC_SC_SC_SC_SC_SC_SC_S0_IfLj3EEiii
	.globl	_Z18bond_wlcpowallviscPdS_S_PK15HIP_vector_typeIfLj4EES3_PKiPKS0_IiLj2EEPKdPKfSC_SC_SC_SC_SC_SC_SC_S0_IfLj3EEiii
	.p2align	8
	.type	_Z18bond_wlcpowallviscPdS_S_PK15HIP_vector_typeIfLj4EES3_PKiPKS0_IiLj2EEPKdPKfSC_SC_SC_SC_SC_SC_SC_S0_IfLj3EEiii,@function
_Z18bond_wlcpowallviscPdS_S_PK15HIP_vector_typeIfLj4EES3_PKiPKS0_IiLj2EEPKdPKfSC_SC_SC_SC_SC_SC_SC_S0_IfLj3EEiii: ; @_Z18bond_wlcpowallviscPdS_S_PK15HIP_vector_typeIfLj4EES3_PKiPKS0_IiLj2EEPKdPKfSC_SC_SC_SC_SC_SC_SC_S0_IfLj3EEiii
; %bb.0:
	s_clause 0x1
	s_load_b64 s[20:21], s[0:1], 0x90
	s_load_b128 s[44:47], s[0:1], 0x80
	s_add_nc_u64 s[2:3], s[0:1], 0x98
                                        ; implicit-def: $sgpr25
	s_mov_b32 s4, exec_lo
	s_wait_kmcnt 0x0
	s_add_co_i32 s23, s20, 1
	s_delay_alu instid0(SALU_CYCLE_1)
	s_lshl_b32 s22, s23, 2
	v_cmpx_ge_i32_e64 s20, v0
	s_xor_b32 s24, exec_lo, s4
	s_cbranch_execz .LBB0_4
; %bb.1:
	s_load_b32 s25, s[2:3], 0xc
	s_clause 0x1
	s_load_b256 s[4:11], s[0:1], 0x60
	s_load_b256 s[12:19], s[0:1], 0x40
	v_lshl_add_u32 v1, v0, 2, 0
	v_mov_b32_e32 v2, v0
	s_mov_b32 s26, 0
	s_wait_kmcnt 0x0
	s_and_b32 s25, s25, 0xffff
	s_delay_alu instid0(SALU_CYCLE_1)
	s_lshl_b32 s27, s25, 2
.LBB0_2:                                ; =>This Inner Loop Header: Depth=1
	s_clause 0x7
	global_load_b32 v3, v2, s[12:13] scale_offset
	global_load_b32 v4, v2, s[14:15] scale_offset
	;; [unrolled: 1-line block ×8, first 2 shown]
	s_wait_xcnt 0x0
	v_dual_add_nc_u32 v11, s22, v1 :: v_dual_add_nc_u32 v2, s25, v2
	s_delay_alu instid0(VALU_DEP_1) | instskip(NEXT) | instid1(VALU_DEP_2)
	v_add_nc_u32_e32 v12, s22, v11
	v_cmp_lt_i32_e32 vcc_lo, s20, v2
	s_delay_alu instid0(VALU_DEP_2) | instskip(SKIP_1) | instid1(VALU_DEP_1)
	v_add_nc_u32_e32 v13, s22, v12
	s_or_b32 s26, vcc_lo, s26
	v_add_nc_u32_e32 v14, s22, v13
	s_delay_alu instid0(VALU_DEP_1)
	v_add_nc_u32_e32 v15, s22, v14
	s_wait_loadcnt 0x7
	ds_store_b32 v1, v3
	s_wait_loadcnt 0x6
	ds_store_b32 v11, v4
	;; [unrolled: 2-line block ×4, first 2 shown]
	v_dual_add_nc_u32 v16, s22, v15 :: v_dual_add_nc_u32 v1, s27, v1
	s_delay_alu instid0(VALU_DEP_1)
	v_add_nc_u32_e32 v17, s22, v16
	s_wait_loadcnt 0x3
	ds_store_b32 v14, v7
	s_wait_loadcnt 0x2
	ds_store_b32 v15, v8
	;; [unrolled: 2-line block ×4, first 2 shown]
	s_and_not1_b32 exec_lo, exec_lo, s26
	s_cbranch_execnz .LBB0_2
; %bb.3:
	s_or_b32 exec_lo, exec_lo, s26
.LBB0_4:
	s_or_saveexec_b32 s4, s24
	v_mov_b32_e32 v1, s25
	s_xor_b32 exec_lo, exec_lo, s4
	s_cbranch_execz .LBB0_6
; %bb.5:
	s_load_b32 s5, s[2:3], 0xc
	s_wait_kmcnt 0x0
	s_and_b32 s5, s5, 0xffff
	s_delay_alu instid0(SALU_CYCLE_1)
	v_mov_b32_e32 v1, s5
.LBB0_6:
	s_or_b32 exec_lo, exec_lo, s4
	s_bfe_u32 s4, ttmp6, 0x4000c
	s_and_b32 s5, ttmp6, 15
	s_add_co_i32 s4, s4, 1
	s_getreg_b32 s6, hwreg(HW_REG_IB_STS2, 6, 4)
	s_mul_i32 s4, ttmp9, s4
	s_mov_b32 s33, 0
	s_add_co_i32 s5, s5, s4
	s_cmp_eq_u32 s6, 0
	s_wait_dscnt 0x0
	s_cselect_b32 s4, ttmp9, s5
	s_barrier_signal -1
	v_mad_u32 v16, s4, v1, v0
	s_barrier_wait -1
	s_mov_b32 s4, exec_lo
	s_delay_alu instid0(VALU_DEP_1)
	v_cmpx_gt_i32_e64 s21, v16
	s_cbranch_execz .LBB0_13
; %bb.7:
	s_load_b32 s4, s[2:3], 0x0
	s_clause 0x1
	s_load_b256 s[24:31], s[0:1], 0x20
	s_load_b256 s[36:43], s[0:1], 0x0
	s_wait_xcnt 0x0
	s_lshl_b32 s3, s23, 3
	v_mov_b64_e32 v[2:3], s[44:45]
	s_ashr_i32 s1, s47, 31
	s_mov_b32 s0, s47
	s_add_co_i32 s47, s3, 0
	v_mov_b64_e32 v[20:21], 0xbf2aaaaa31739010
	s_add_co_i32 s55, s47, s22
	v_mov_b32_e32 v15, 0x3f2aaaaa
	s_add_co_i32 s56, s55, s22
	v_pk_mul_f32 v[18:19], v[2:3], 0.5 op_sel_hi:[1,0]
	s_add_co_i32 s58, s56, s22
	s_lshl_b32 s2, s20, 2
	s_mul_f32 s53, s46, 0.5
	s_add_co_i32 s59, s58, s22
	s_mov_b32 s54, 0x3e76c4e1
	s_mov_b32 s23, 0x3f2aaaaa
	s_add_co_i32 s57, s2, 0
	s_wait_kmcnt 0x0
	v_mul_lo_u32 v11, s4, v1
	s_lshl_b64 s[34:35], s[0:1], 3
	s_add_co_i32 s60, s59, s22
	s_mov_b64 s[48:49], 0x3fefae147ae147ae
	s_mov_b64 s[50:51], 0x3f847ae147ae147b
	s_brev_b32 s22, 12
	s_mov_b32 s61, 0x3e75aa41
	s_mov_b32 s62, 0x3d4be544
	;; [unrolled: 1-line block ×3, first 2 shown]
	s_branch .LBB0_9
.LBB0_8:                                ;   in Loop: Header=BB0_9 Depth=1
	s_or_b32 exec_lo, exec_lo, s63
	s_delay_alu instid0(VALU_DEP_2)
	v_add_nc_u64_e32 v[6:7], s[36:37], v[22:23]
	v_add_nc_u64_e32 v[8:9], s[38:39], v[22:23]
	;; [unrolled: 1-line block ×3, first 2 shown]
	global_load_b64 v[22:23], v[6:7], off
	global_load_b64 v[24:25], v[8:9], off
	;; [unrolled: 1-line block ×3, first 2 shown]
	v_add_nc_u32_e32 v16, v16, v11
	s_delay_alu instid0(VALU_DEP_1)
	v_cmp_le_i32_e32 vcc_lo, s21, v16
	s_or_b32 s33, vcc_lo, s33
	s_wait_loadcnt 0x2
	v_add_f64_e32 v[0:1], v[22:23], v[0:1]
	s_wait_loadcnt 0x1
	v_add_f64_e32 v[2:3], v[24:25], v[2:3]
	;; [unrolled: 2-line block ×3, first 2 shown]
	global_store_b64 v[6:7], v[0:1], off
	global_store_b64 v[8:9], v[2:3], off
	;; [unrolled: 1-line block ×3, first 2 shown]
	s_wait_xcnt 0x0
	s_and_not1_b32 exec_lo, exec_lo, s33
	s_cbranch_execz .LBB0_13
.LBB0_9:                                ; =>This Loop Header: Depth=1
                                        ;     Child Loop BB0_11 Depth 2
	global_load_b32 v60, v16, s[26:27] scale_offset
	v_ashrrev_i32_e32 v17, 31, v16
	v_mov_b64_e32 v[0:1], 0
	v_mov_b64_e32 v[2:3], 0
	;; [unrolled: 1-line block ×3, first 2 shown]
	s_mov_b32 s63, exec_lo
	v_lshlrev_b64_e32 v[22:23], 3, v[16:17]
	s_wait_loadcnt 0x0
	s_wait_xcnt 0x0
	v_cmpx_lt_i32_e32 0, v60
	s_cbranch_execz .LBB0_8
; %bb.10:                               ;   in Loop: Header=BB0_9 Depth=1
	v_lshlrev_b64_e32 v[0:1], 4, v[16:17]
	v_dual_mov_b32 v17, 0 :: v_dual_mov_b32 v24, 0
	v_mov_b64_e32 v[26:27], v[22:23]
	s_mov_b32 s64, 0
	s_delay_alu instid0(VALU_DEP_2) | instskip(NEXT) | instid1(VALU_DEP_4)
	v_mov_b32_e32 v25, v17
	v_add_nc_u64_e32 v[4:5], s[24:25], v[0:1]
	v_add_nc_u64_e32 v[6:7], s[42:43], v[0:1]
	global_load_b128 v[0:3], v[4:5], off
	global_load_b96 v[8:10], v[6:7], off
	s_wait_loadcnt 0x1
	v_dual_add_nc_u32 v61, 1, v3 :: v_dual_add_nc_u32 v62, 2, v3
.LBB0_11:                               ;   Parent Loop BB0_9 Depth=1
                                        ; =>  This Inner Loop Header: Depth=2
	s_wait_xcnt 0x0
	v_add_nc_u64_e32 v[6:7], s[28:29], v[26:27]
	v_add_nc_u64_e32 v[12:13], s[30:31], v[26:27]
	;; [unrolled: 1-line block ×3, first 2 shown]
	global_load_b64 v[4:5], v[6:7], off
	global_load_b64 v[28:29], v[12:13], off
	s_wait_loadcnt 0x1
	v_dual_add_nc_u32 v60, -1, v60 :: v_dual_lshlrev_b32 v14, 2, v5
	s_wait_xcnt 0x0
	v_ashrrev_i32_e32 v13, 31, v4
	s_wait_loadcnt 0x0
	v_cvt_f32_f64_e32 v29, v[28:29]
	v_mov_b32_e32 v12, v4
	global_load_b128 v[4:7], v4, s[24:25] scale_offset
	v_dual_add_nc_u32 v28, s55, v14 :: v_dual_add_nc_u32 v30, 0, v14
	v_dual_add_nc_u32 v31, s47, v14 :: v_dual_add_nc_u32 v32, s59, v14
	;; [unrolled: 1-line block ×4, first 2 shown]
	ds_load_b32 v36, v28
	ds_load_b32 v64, v30
	ds_load_b32 v63, v31
	ds_load_b32 v30, v32
	ds_load_b32 v31, v33
	ds_load_b32 v32, v34
	ds_load_b32 v28, v35
	ds_load_b32 v38, v14 offset:4
	v_lshl_add_u64 v[12:13], v[12:13], 4, s[42:43]
	global_load_b96 v[12:14], v[12:13], off
	s_wait_dscnt 0x7
	v_add_f32_e32 v65, 1.0, v36
	s_wait_dscnt 0x0
	v_div_scale_f32 v40, null, v38, v38, 1.0
	v_cmp_eq_f32_e64 s0, 1.0, v29
	v_div_scale_f32 v42, vcc_lo, 1.0, v38, 1.0
	s_delay_alu instid0(VALU_DEP_3) | instskip(NEXT) | instid1(VALU_DEP_2)
	v_rcp_f32_e32 v43, v40
	v_cndmask_b32_e64 v33, v36, 1.0, s0
	v_cndmask_b32_e64 v54, v65, 1.0, s0
	s_delay_alu instid0(VALU_DEP_2) | instskip(SKIP_1) | instid1(VALU_DEP_3)
	v_cmp_neq_f32_e64 s1, 0, v33
	v_mul_f32_e32 v58, v38, v29
	v_dual_mul_f32 v39, 0.5, v33 :: v_dual_mul_f32 v44, 0.5, v54
	s_delay_alu instid0(TRANS32_DEP_1) | instskip(NEXT) | instid1(VALU_DEP_4)
	v_fma_f32 v45, -v40, v43, 1.0
	v_cndmask_b32_e64 v56, 1.0, v29, s1
	v_cmp_neq_f32_e64 s1, 0, v54
	v_trunc_f32_e32 v36, v33
	v_cmp_gt_f32_e64 s0, 0, v33
	v_fmac_f32_e32 v43, v45, v43
	v_frexp_mant_f32_e64 v41, |v56|
	v_cndmask_b32_e64 v55, 1.0, v29, s1
	v_trunc_f32_e32 v29, v39
	v_cvt_f64_f32_e64 v[34:35], |v56|
	v_cmp_eq_f32_e64 s1, 0, v56
	v_cmp_gt_f32_e64 s6, 0x3f2aaaab, v41
	v_frexp_mant_f32_e64 v48, |v55|
	v_cmp_eq_f32_e64 s2, v36, v33
	v_trunc_f32_e32 v46, v54
	v_cmp_neq_f32_e64 s7, v29, v39
	v_cndmask_b32_e64 v47, 1.0, 2.0, s6
	v_trunc_f32_e32 v29, v44
	v_cmp_gt_f32_e64 s8, 0x3f2aaaab, v48
	v_cvt_f64_f32_e64 v[36:37], |v55|
	s_xor_b32 s0, s0, s1
	v_cmp_eq_f32_e64 s4, v46, v54
	v_cndmask_b32_e64 v45, 0x7f800000, 0, s0
	v_cndmask_b32_e64 v39, 1.0, 2.0, s8
	v_cmp_neq_f32_e64 s0, v29, v44
	s_and_b32 s7, s2, s7
	s_delay_alu instid0(SALU_CYCLE_1) | instskip(SKIP_1) | instid1(VALU_DEP_2)
	v_dual_mul_f32 v46, v41, v47 :: v_dual_cndmask_b32 v71, 1.0, v56, s7
	v_dual_mul_f32 v29, v42, v43 :: v_dual_cndmask_b32 v41, 0, v56, s7
	v_dual_mul_f32 v48, v48, v39 :: v_dual_add_f32 v47, 1.0, v46
	s_delay_alu instid0(VALU_DEP_2)
	v_dual_add_f32 v39, -1.0, v46 :: v_dual_fma_f32 v49, -v40, v29, v42
	v_cmp_gt_f32_e64 s5, 0, v54
	v_cmp_eq_f32_e64 s3, 0, v55
	s_and_b32 s0, s4, s0
	v_dual_add_f32 v50, -1.0, v47 :: v_dual_add_f32 v52, 1.0, v48
	v_fmac_f32_e32 v29, v49, v43
	s_xor_b32 s5, s5, s3
	v_rcp_f32_e32 v51, v47
	v_cndmask_b32_e64 v44, 0x7f800000, 0, s5
	v_cndmask_b32_e64 v59, 1.0, v55, s0
	v_bfi_b32 v72, 0x7fffffff, v45, v41
	v_dual_cndmask_b32 v45, 0, v55, s0 :: v_dual_add_f32 v41, -1.0, v48
	v_fma_f32 v40, -v40, v29, v42
	v_rcp_f32_e32 v49, v52
	v_frexp_exp_i32_f64_e32 v34, v[34:35]
	s_delay_alu instid0(VALU_DEP_3)
	v_bfi_b32 v57, 0x7fffffff, v44, v45
	v_dual_sub_f32 v45, v46, v50 :: v_dual_add_f32 v44, -1.0, v52
	v_mul_f32_e32 v50, v39, v51
	v_div_fmas_f32 v29, v40, v43, v29
	v_cmp_neq_f32_e64 s7, v54, |v54|
	v_cmp_class_f32_e64 s12, v56, 0x204
	s_delay_alu instid0(VALU_DEP_4) | instskip(SKIP_4) | instid1(VALU_DEP_4)
	v_dual_sub_f32 v40, v48, v44 :: v_dual_mul_f32 v42, v47, v50
	v_mul_f32_e32 v48, v41, v49
	v_div_fixup_f32 v35, v29, v38, 1.0
	v_frexp_exp_i32_f64_e32 v29, v[36:37]
	v_cmp_class_f32_e64 s13, v55, 0x204
	v_dual_fma_f32 v44, v50, v47, -v42 :: v_dual_mul_f32 v46, v52, v48
	s_delay_alu instid0(VALU_DEP_4) | instskip(NEXT) | instid1(VALU_DEP_2)
	v_dual_sub_f32 v37, 1.0, v35 :: v_dual_mul_f32 v53, 0.5, v35
	v_dual_fmac_f32 v44, v50, v45 :: v_dual_fma_f32 v36, v48, v52, -v46
	s_delay_alu instid0(VALU_DEP_1) | instskip(NEXT) | instid1(VALU_DEP_1)
	v_dual_mul_f32 v66, v37, v37 :: v_dual_add_f32 v38, v42, v44
	v_dual_mul_f32 v52, v37, v66 :: v_dual_fmac_f32 v36, v48, v40
	v_div_scale_f32 v69, null, v66, v66, 0x3e800000
	s_delay_alu instid0(VALU_DEP_3) | instskip(NEXT) | instid1(VALU_DEP_3)
	v_sub_f32_e32 v43, v39, v38
	v_div_scale_f32 v73, null, v52, v52, v53
	s_delay_alu instid0(VALU_DEP_4) | instskip(SKIP_1) | instid1(VALU_DEP_4)
	v_add_f32_e32 v40, v46, v36
	v_mov_b32_e32 v45, v38
	v_pk_add_f32 v[38:39], v[38:39], v[42:43] neg_lo:[0,1] neg_hi:[0,1]
	v_rcp_f32_e32 v67, v69
	v_rcp_f32_e32 v75, v73
	v_sub_f32_e32 v47, v41, v40
	v_subrev_co_ci_u32_e64 v34, null, 0, v34, s6
	v_pk_add_f32 v[38:39], v[38:39], v[44:45] neg_lo:[0,1] neg_hi:[0,1]
	v_mov_b32_e32 v37, v40
	s_delay_alu instid0(VALU_DEP_4) | instskip(SKIP_3) | instid1(VALU_DEP_4)
	v_pk_add_f32 v[40:41], v[40:41], v[46:47] neg_lo:[0,1] neg_hi:[0,1]
	v_fma_f32 v42, -v69, v67, 1.0
	v_div_scale_f32 v70, s0, 0x3e800000, v66, 0x3e800000
	v_add_f32_e32 v38, v38, v39
	v_pk_add_f32 v[36:37], v[40:41], v[36:37] neg_lo:[0,1] neg_hi:[0,1]
	v_fma_f32 v39, -v73, v75, 1.0
	v_fmac_f32_e32 v67, v42, v67
	v_cvt_f32_i32_e32 v34, v34
	v_subrev_co_ci_u32_e64 v29, null, 0, v29, s8
	v_dual_add_f32 v40, v43, v38 :: v_dual_add_f32 v36, v36, v37
	v_div_scale_f32 v74, vcc_lo, v53, v52, v53
	s_delay_alu instid0(VALU_DEP_4) | instskip(NEXT) | instid1(VALU_DEP_3)
	v_dual_fmac_f32 v75, v39, v75 :: v_dual_mul_f32 v38, 0x3f317218, v34
	v_dual_mul_f32 v68, v70, v67 :: v_dual_mul_f32 v39, v51, v40
	v_cvt_f32_i32_e32 v29, v29
	s_delay_alu instid0(VALU_DEP_3) | instskip(NEXT) | instid1(VALU_DEP_3)
	v_dual_add_f32 v37, v47, v36 :: v_dual_mul_f32 v41, v74, v75
	v_dual_fma_f32 v43, -v69, v68, v70 :: v_dual_add_f32 v42, v50, v39
	v_fma_f32 v36, 0x3f317218, v34, -v38
	s_delay_alu instid0(VALU_DEP_4) | instskip(NEXT) | instid1(VALU_DEP_3)
	v_mul_f32_e32 v40, 0x3f317218, v29
	v_dual_mul_f32 v47, v49, v37 :: v_dual_fmac_f32 v68, v43, v67
	v_fma_f32 v45, -v73, v41, v74
	s_delay_alu instid0(VALU_DEP_4)
	v_fmac_f32_e32 v36, 0xb102e308, v34
	v_sub_f32_e32 v34, v42, v50
	v_mul_f32_e32 v43, v42, v42
	v_fma_f32 v44, 0x3f317218, v29, -v40
	v_dual_add_f32 v46, v48, v47 :: v_dual_fma_f32 v69, -v69, v68, v70
	v_fmac_f32_e32 v41, v45, v75
	v_ldexp_f32 v37, v42, 1
	s_delay_alu instid0(VALU_DEP_4) | instskip(NEXT) | instid1(VALU_DEP_4)
	v_dual_fmac_f32 v44, 0xb102e308, v29 :: v_dual_sub_f32 v29, v39, v34
	v_dual_sub_f32 v39, v46, v48 :: v_dual_mul_f32 v49, v46, v46
	s_delay_alu instid0(VALU_DEP_4) | instskip(NEXT) | instid1(VALU_DEP_2)
	v_dual_fma_f32 v34, v42, v42, -v43 :: v_dual_fma_f32 v48, -v73, v41, v74
	v_dual_add_f32 v50, v29, v29 :: v_dual_sub_f32 v39, v47, v39
	s_delay_alu instid0(VALU_DEP_3) | instskip(SKIP_1) | instid1(VALU_DEP_4)
	v_fma_f32 v47, v46, v46, -v49
	v_ldexp_f32 v45, v46, 1
	v_div_fmas_f32 v41, v48, v75, v41
	s_delay_alu instid0(VALU_DEP_4) | instskip(SKIP_2) | instid1(VALU_DEP_4)
	v_dual_fmac_f32 v34, v42, v50 :: v_dual_add_f32 v50, v39, v39
	v_ldexp_f32 v73, v29, 1
	v_ldexp_f32 v84, v39, 1
	v_div_fixup_f32 v70, v41, v52, v53
	v_cmp_lt_f32_e64 s8, |v55|, 1.0
	v_fmac_f32_e32 v47, v46, v50
	s_delay_alu instid0(VALU_DEP_1) | instskip(NEXT) | instid1(VALU_DEP_1)
	v_dual_add_f32 v48, v43, v34 :: v_dual_add_f32 v50, v49, v47
	v_fmaak_f32 v41, s54, v48, 0x3e91f4c4
	s_delay_alu instid0(VALU_DEP_2) | instskip(NEXT) | instid1(VALU_DEP_1)
	v_dual_sub_f32 v43, v48, v43 :: v_dual_sub_f32 v49, v50, v49
	v_dual_fmaak_f32 v41, v48, v41, 0x3ecccdef :: v_dual_sub_f32 v34, v34, v43
	s_delay_alu instid0(VALU_DEP_2) | instskip(NEXT) | instid1(VALU_DEP_2)
	v_sub_f32_e32 v85, v47, v49
	v_mul_f32_e32 v51, v48, v41
	s_delay_alu instid0(VALU_DEP_1) | instskip(NEXT) | instid1(VALU_DEP_1)
	v_fma_f32 v47, v48, v41, -v51
	v_fmac_f32_e32 v47, v34, v41
	s_delay_alu instid0(VALU_DEP_1) | instskip(NEXT) | instid1(VALU_DEP_1)
	v_dual_fmaak_f32 v43, s54, v50, 0x3e91f4c4 :: v_dual_add_f32 v52, v51, v47
	v_fmaak_f32 v43, v50, v43, 0x3ecccdef
	s_delay_alu instid0(VALU_DEP_2) | instskip(NEXT) | instid1(VALU_DEP_2)
	v_add_f32_e32 v53, 0x3f2aaaaa, v52
	v_mul_f32_e32 v49, v50, v43
	s_delay_alu instid0(VALU_DEP_1) | instskip(NEXT) | instid1(VALU_DEP_1)
	v_fma_f32 v41, v50, v43, -v49
	v_fmac_f32_e32 v41, v85, v43
	s_delay_alu instid0(VALU_DEP_4) | instskip(NEXT) | instid1(VALU_DEP_1)
	v_dual_sub_f32 v43, v52, v51 :: v_dual_add_f32 v74, 0xbf2aaaaa, v53
	v_dual_add_f32 v51, v49, v41 :: v_dual_sub_f32 v43, v47, v43
	s_delay_alu instid0(VALU_DEP_1) | instskip(NEXT) | instid1(VALU_DEP_3)
	v_add_f32_e32 v75, 0x3f2aaaaa, v51
	v_dual_sub_f32 v47, v51, v49 :: v_dual_sub_f32 v49, v52, v74
	s_delay_alu instid0(VALU_DEP_2) | instskip(NEXT) | instid1(VALU_DEP_1)
	v_add_f32_e32 v52, 0xbf2aaaaa, v75
	v_dual_sub_f32 v41, v41, v47 :: v_dual_sub_f32 v51, v51, v52
	s_delay_alu instid0(VALU_DEP_1) | instskip(NEXT) | instid1(VALU_DEP_1)
	v_add_f32_e32 v47, 0x31739010, v41
	v_pk_mul_f32 v[80:81], v[46:47], v[50:51]
	s_delay_alu instid0(VALU_DEP_1) | instskip(NEXT) | instid1(VALU_DEP_1)
	v_fma_f32 v74, v50, v46, -v80
	v_fmac_f32_e32 v74, v50, v39
	v_pk_add_f32 v[82:83], v[46:47], v[50:51]
	s_delay_alu instid0(VALU_DEP_1) | instskip(NEXT) | instid1(VALU_DEP_1)
	v_dual_fmac_f32 v74, v85, v46 :: v_dual_mov_b32 v81, v83
	v_pk_add_f32 v[46:47], v[80:81], v[74:75]
	v_add_f32_e32 v43, 0x31739010, v43
	s_delay_alu instid0(VALU_DEP_2) | instskip(NEXT) | instid1(VALU_DEP_2)
	v_dual_sub_f32 v41, v46, v80 :: v_dual_sub_f32 v51, v75, v47
	v_pk_mul_f32 v[76:77], v[42:43], v[48:49]
	v_pk_add_f32 v[78:79], v[42:43], v[48:49]
	s_delay_alu instid0(VALU_DEP_1) | instskip(NEXT) | instid1(VALU_DEP_1)
	v_dual_fma_f32 v52, v48, v42, -v76 :: v_dual_mov_b32 v77, v79
	v_fmac_f32_e32 v52, v48, v29
	s_delay_alu instid0(VALU_DEP_1) | instskip(NEXT) | instid1(VALU_DEP_1)
	v_fmac_f32_e32 v52, v34, v42
	v_pk_add_f32 v[42:43], v[76:77], v[52:53]
	s_delay_alu instid0(VALU_DEP_1) | instskip(NEXT) | instid1(VALU_DEP_2)
	v_dual_mov_b32 v34, v43 :: v_dual_sub_f32 v39, v53, v43
	v_sub_f32_e32 v29, v42, v76
	s_wait_loadcnt 0x1
	v_cmp_gt_i32_e32 vcc_lo, v3, v7
	s_wait_xcnt 0x1
	v_pk_add_f32 v[4:5], v[0:1], v[4:5] neg_lo:[0,1] neg_hi:[0,1]
	v_pk_mul_f32 v[48:49], v[42:43], v[34:35]
	v_dual_mov_b32 v34, v47 :: v_dual_sub_f32 v29, v52, v29
	v_dual_add_f32 v39, v79, v39 :: v_dual_mov_b32 v49, v37
	s_delay_alu instid0(VALU_DEP_3) | instskip(NEXT) | instid1(VALU_DEP_3)
	v_fma_f32 v50, v42, v43, -v48
	v_pk_mul_f32 v[52:53], v[46:47], v[34:35]
	v_dual_mov_b32 v53, v45 :: v_dual_sub_f32 v34, v74, v41
	v_add_f32_e32 v41, v83, v51
	s_delay_alu instid0(VALU_DEP_4) | instskip(NEXT) | instid1(VALU_DEP_1)
	v_fmac_f32_e32 v50, v42, v39
	v_fmac_f32_e32 v50, v29, v43
	s_delay_alu instid0(VALU_DEP_1) | instskip(NEXT) | instid1(VALU_DEP_1)
	v_dual_fma_f32 v42, v46, v47, -v52 :: v_dual_add_f32 v39, v48, v50
	v_dual_fmac_f32 v42, v46, v41 :: v_dual_mov_b32 v46, v39
	s_delay_alu instid0(VALU_DEP_1) | instskip(SKIP_1) | instid1(VALU_DEP_1)
	v_dual_fmac_f32 v42, v34, v47 :: v_dual_mov_b32 v51, v39
	v_pk_add_f32 v[74:75], v[38:39], v[36:37]
	v_dual_add_f32 v41, v52, v42 :: v_dual_mov_b32 v47, v75
	s_delay_alu instid0(VALU_DEP_2) | instskip(SKIP_1) | instid1(VALU_DEP_3)
	v_dual_mov_b32 v37, v74 :: v_dual_mov_b32 v81, v74
	v_mov_b32_e32 v82, v75
	v_pk_add_f32 v[76:77], v[40:41], v[44:45]
	v_mov_b32_e32 v78, v41
	v_pk_add_f32 v[46:47], v[46:47], v[48:49] neg_lo:[0,1] neg_hi:[0,1]
	s_delay_alu instid0(VALU_DEP_3) | instskip(NEXT) | instid1(VALU_DEP_4)
	v_dual_mov_b32 v43, v41 :: v_dual_mov_b32 v79, v77
	v_mov_b32_e32 v45, v76
	s_delay_alu instid0(VALU_DEP_3) | instskip(SKIP_1) | instid1(VALU_DEP_4)
	v_pk_add_f32 v[46:47], v[50:51], v[46:47] neg_lo:[0,1] neg_hi:[0,1]
	v_dual_mov_b32 v85, v76 :: v_dual_mov_b32 v86, v77
	v_pk_add_f32 v[48:49], v[78:79], v[52:53] neg_lo:[0,1] neg_hi:[0,1]
	s_delay_alu instid0(VALU_DEP_3) | instskip(NEXT) | instid1(VALU_DEP_2)
	v_add_f32_e32 v29, v73, v46
	v_pk_add_f32 v[42:43], v[42:43], v[48:49] neg_lo:[0,1] neg_hi:[0,1]
	s_delay_alu instid0(VALU_DEP_1) | instskip(NEXT) | instid1(VALU_DEP_1)
	v_dual_add_f32 v39, v29, v47 :: v_dual_add_f32 v29, v84, v42
	v_pk_add_f32 v[48:49], v[74:75], v[38:39]
	s_delay_alu instid0(VALU_DEP_2) | instskip(SKIP_1) | instid1(VALU_DEP_2)
	v_dual_mov_b32 v80, v39 :: v_dual_add_f32 v41, v29, v43
	v_pk_add_f32 v[42:43], v[74:75], v[38:39] neg_lo:[0,1] neg_hi:[0,1]
	v_pk_add_f32 v[50:51], v[76:77], v[40:41]
	v_pk_add_f32 v[52:53], v[76:77], v[40:41] neg_lo:[0,1] neg_hi:[0,1]
	s_delay_alu instid0(VALU_DEP_2) | instskip(SKIP_1) | instid1(VALU_DEP_2)
	v_dual_mov_b32 v53, v51 :: v_dual_mov_b32 v43, v49
	v_mov_b32_e32 v84, v41
	v_pk_add_f32 v[78:79], v[44:45], v[52:53]
	s_delay_alu instid0(VALU_DEP_3)
	v_pk_add_f32 v[40:41], v[36:37], v[42:43]
	v_mov_b32_e32 v40, v49
	v_pk_add_f32 v[38:39], v[36:37], v[42:43] neg_lo:[0,1] neg_hi:[0,1]
	v_pk_add_f32 v[36:37], v[44:45], v[52:53] neg_lo:[0,1] neg_hi:[0,1]
	v_dual_mov_b32 v34, v79 :: v_dual_mov_b32 v37, v79
	v_dual_mov_b32 v46, v41 :: v_dual_mov_b32 v39, v41
	v_mov_b32_e32 v78, v51
	s_delay_alu instid0(VALU_DEP_3) | instskip(SKIP_1) | instid1(VALU_DEP_4)
	v_pk_add_f32 v[44:45], v[34:35], v[76:77] neg_lo:[0,1] neg_hi:[0,1]
	v_min_i32_e32 v77, v3, v7
	v_pk_add_f32 v[42:43], v[46:47], v[74:75] neg_lo:[0,1] neg_hi:[0,1]
	v_dual_add_nc_u32 v74, 1, v7 :: v_dual_max_i32 v47, v3, v7
	s_delay_alu instid0(VALU_DEP_4) | instskip(NEXT) | instid1(VALU_DEP_3)
	v_dual_add_nc_u32 v75, 2, v7 :: v_dual_mov_b32 v45, v44
	v_dual_mov_b32 v87, v44 :: v_dual_mov_b32 v83, v42
	v_dual_mov_b32 v29, v42 :: v_dual_cndmask_b32 v76, v61, v7
	s_delay_alu instid0(VALU_DEP_4) | instskip(NEXT) | instid1(VALU_DEP_3)
	v_cndmask_b32_e32 v73, v3, v74, vcc_lo
	v_pk_add_f32 v[40:41], v[40:41], v[82:83] neg_lo:[0,1] neg_hi:[0,1]
	s_delay_alu instid0(VALU_DEP_3)
	v_pk_add_f32 v[52:53], v[48:49], v[28:29] neg_lo:[0,1] neg_hi:[0,1]
	v_mov_b32_e32 v52, v38
	v_pk_add_f32 v[48:49], v[50:51], v[44:45] neg_lo:[0,1] neg_hi:[0,1]
	v_sub_f32_e32 v29, v2, v6
	v_pk_add_f32 v[42:43], v[80:81], v[40:41] neg_lo:[0,1] neg_hi:[0,1]
	v_pk_add_f32 v[40:41], v[78:79], v[86:87] neg_lo:[0,1] neg_hi:[0,1]
	v_dual_mov_b32 v48, v36 :: v_dual_lshrrev_b32 v79, 5, v77
	v_cndmask_b32_e32 v81, v61, v74, vcc_lo
	s_delay_alu instid0(VALU_DEP_4) | instskip(NEXT) | instid1(VALU_DEP_4)
	v_pk_add_f32 v[44:45], v[52:53], v[42:43]
	v_pk_add_f32 v[40:41], v[84:85], v[40:41] neg_lo:[0,1] neg_hi:[0,1]
	v_dual_cndmask_b32 v53, v7, v61 :: v_dual_cndmask_b32 v6, v7, v62
	v_cndmask_b32_e32 v52, v62, v7, vcc_lo
	v_lshl_add_u32 v7, v77, 4, 0xa341316c
	v_dual_cndmask_b32 v84, v61, v75 :: v_dual_add_nc_u32 v43, 0x9e3779b9, v77
	v_dual_cndmask_b32 v88, v3, v75, vcc_lo :: v_dual_mov_b32 v78, v45
	v_pk_add_f32 v[50:51], v[48:49], v[40:41]
	v_add_nc_u32_e32 v41, 0xc8013ea4, v79
	v_lshl_add_u32 v79, v76, 4, 0xa341316c
	v_dual_cndmask_b32 v80, v74, v61, vcc_lo :: v_dual_bitop2_b32 v7, v7, v43 bitop3:0x14
	v_dual_cndmask_b32 v82, v75, v61 :: v_dual_cndmask_b32 v85, v62, v74
	v_cndmask_b32_e32 v86, v62, v75, vcc_lo
	s_delay_alu instid0(VALU_DEP_4) | instskip(NEXT) | instid1(VALU_DEP_4)
	v_pk_add_f32 v[48:49], v[44:45], v[78:79]
	v_xad_u32 v89, v7, v41, v47
	v_add_nc_u32_e32 v7, 0x9e3779b9, v76
	v_lshrrev_b32_e32 v41, 5, v76
	v_lshl_add_u32 v45, v81, 4, 0xa341316c
	v_pk_add_f32 v[46:47], v[46:47], v[48:49]
	s_delay_alu instid0(VALU_DEP_4) | instskip(SKIP_4) | instid1(VALU_DEP_4)
	v_dual_mov_b32 v43, v48 :: v_dual_bitop2_b32 v7, v79, v7 bitop3:0x14
	v_add_nc_u32_e32 v47, 0x9e3779b9, v81
	v_lshrrev_b32_e32 v48, 5, v81
	v_add_nc_u32_e32 v41, 0xc8013ea4, v41
	v_dual_cndmask_b32 v83, v74, v62, vcc_lo :: v_dual_cndmask_b32 v87, v75, v62, vcc_lo
	v_xor_b32_e32 v45, v45, v47
	s_delay_alu instid0(VALU_DEP_4) | instskip(NEXT) | instid1(VALU_DEP_4)
	v_add_nc_u32_e32 v48, 0xc8013ea4, v48
	v_xad_u32 v90, v7, v41, v53
	v_lshl_add_u32 v7, v84, 4, 0xa341316c
	v_add_nc_u32_e32 v41, 0x9e3779b9, v84
	s_wait_loadcnt 0x0
	v_dual_lshrrev_b32 v47, 5, v84 :: v_dual_sub_f32 v53, v10, v14
	v_xad_u32 v91, v45, v48, v80
	v_lshl_add_u32 v45, v52, 4, 0xa341316c
	v_add_nc_u32_e32 v48, 0x9e3779b9, v52
	v_dual_lshrrev_b32 v41, 5, v52 :: v_dual_bitop2_b32 v7, v7, v41 bitop3:0x14
	v_add_nc_u32_e32 v47, 0xc8013ea4, v47
	s_delay_alu instid0(VALU_DEP_3) | instskip(SKIP_1) | instid1(VALU_DEP_4)
	v_dual_lshrrev_b32 v14, 5, v86 :: v_dual_bitop2_b32 v45, v45, v48 bitop3:0x14
	v_lshrrev_b32_e32 v48, 5, v85
	v_add_nc_u32_e32 v41, 0xc8013ea4, v41
	s_delay_alu instid0(VALU_DEP_4)
	v_xad_u32 v79, v7, v47, v82
	v_lshl_add_u32 v7, v85, 4, 0xa341316c
	v_add_nc_u32_e32 v47, 0x9e3779b9, v85
	v_lshl_add_u32 v82, v88, 4, 0xa341316c
	v_xad_u32 v80, v45, v41, v6
	v_lshl_add_u32 v41, v86, 4, 0xa341316c
	v_add_nc_u32_e32 v45, 0x9e3779b9, v86
	v_xor_b32_e32 v6, v7, v47
	v_add_nc_u32_e32 v7, 0xc8013ea4, v48
	s_delay_alu instid0(VALU_DEP_1)
	v_xad_u32 v47, v6, v7, v83
	v_pk_add_f32 v[6:7], v[8:9], v[12:13] neg_lo:[0,1] neg_hi:[0,1]
	s_wait_xcnt 0x0
	v_xor_b32_e32 v12, v41, v45
	v_add_nc_u32_e32 v45, 0x9e3779b9, v88
	v_add_nc_u32_e32 v13, 0xc8013ea4, v14
	v_cmp_nlt_f32_e64 s5, v7, v19
	v_cmp_gt_f32_e64 s6, v7, -v19
	s_delay_alu instid0(VALU_DEP_4) | instskip(SKIP_3) | instid1(VALU_DEP_1)
	v_xor_b32_e32 v14, v82, v45
	v_mov_b32_e32 v45, v46
	v_xad_u32 v78, v12, v13, v87
	v_mov_b32_e32 v12, v51
	v_pk_add_f32 v[12:13], v[50:51], v[12:13]
	s_delay_alu instid0(VALU_DEP_1)
	v_pk_add_f32 v[48:49], v[34:35], v[12:13]
	v_mov_b32_e32 v41, v12
	v_lshl_add_u32 v12, v73, 4, 0xa341316c
	v_add_nc_u32_e32 v13, 0x9e3779b9, v73
	v_cndmask_b32_e64 v34, 0, -s45, s5
	v_cmp_nlt_f32_e64 s5, v6, v18
	s_delay_alu instid0(VALU_DEP_2) | instskip(NEXT) | instid1(VALU_DEP_2)
	v_dual_cndmask_b32 v13, s45, v34, s6 :: v_dual_bitop2_b32 v51, v12, v13 bitop3:0x14
	v_cndmask_b32_e64 v12, 0, -s44, s5
	v_cmp_gt_f32_e64 s5, v6, -v18
	v_cmp_lt_f32_e64 s6, |v56|, 1.0
	s_delay_alu instid0(VALU_DEP_2) | instskip(SKIP_1) | instid1(VALU_DEP_2)
	v_cndmask_b32_e64 v12, s44, v12, s5
	v_cmp_neq_f32_e64 s5, v33, |v33|
	v_pk_add_f32 v[6:7], v[6:7], v[12:13]
	v_lshl_add_u32 v12, v89, 4, 0xad90777d
	v_add_nc_u32_e32 v13, 0x9e3779b9, v89
	s_xor_b32 s6, s5, s6
	v_cmp_ngt_f32_e64 s5, s53, v53
	s_delay_alu instid0(VALU_DEP_2) | instskip(SKIP_1) | instid1(VALU_DEP_3)
	v_xor_b32_e32 v12, v12, v13
	v_lshrrev_b32_e32 v13, 5, v89
	v_cndmask_b32_e64 v34, 0, -s46, s5
	v_cmp_gt_f32_e64 s5, v53, -s53
	s_delay_alu instid0(VALU_DEP_3) | instskip(NEXT) | instid1(VALU_DEP_1)
	v_add_nc_u32_e32 v13, 0x7e95761e, v13
	v_xad_u32 v77, v12, v13, v77
	v_pk_add_f32 v[12:13], v[44:45], v[38:39] neg_lo:[0,1] neg_hi:[0,1]
	s_delay_alu instid0(VALU_DEP_1) | instskip(NEXT) | instid1(VALU_DEP_2)
	v_sub_f32_e32 v39, v44, v12
	v_pk_add_f32 v[82:83], v[42:43], v[12:13] neg_lo:[0,1] neg_hi:[0,1]
	v_lshl_add_u32 v12, v90, 4, 0xad90777d
	v_add_nc_u32_e32 v13, 0x9e3779b9, v90
	s_delay_alu instid0(VALU_DEP_1) | instskip(NEXT) | instid1(VALU_DEP_1)
	v_dual_lshrrev_b32 v13, 5, v90 :: v_dual_bitop2_b32 v12, v12, v13 bitop3:0x14
	v_add_nc_u32_e32 v13, 0x7e95761e, v13
	s_delay_alu instid0(VALU_DEP_1) | instskip(SKIP_2) | instid1(VALU_DEP_1)
	v_xad_u32 v43, v12, v13, v76
	v_lshl_add_u32 v12, v91, 4, 0xad90777d
	v_add_nc_u32_e32 v13, 0x9e3779b9, v91
	v_dual_sub_f32 v76, v38, v39 :: v_dual_bitop2_b32 v12, v12, v13 bitop3:0x14
	s_delay_alu instid0(VALU_DEP_1) | instskip(NEXT) | instid1(VALU_DEP_1)
	v_dual_add_f32 v76, v82, v76 :: v_dual_lshrrev_b32 v13, 5, v91
	v_dual_add_f32 v76, v76, v83 :: v_dual_add_nc_u32 v13, 0x7e95761e, v13
	s_delay_alu instid0(VALU_DEP_1) | instskip(SKIP_2) | instid1(VALU_DEP_1)
	v_xad_u32 v42, v12, v13, v81
	v_lshl_add_u32 v12, v79, 4, 0xad90777d
	v_add_nc_u32_e32 v13, 0x9e3779b9, v79
	v_dual_lshrrev_b32 v13, 5, v79 :: v_dual_bitop2_b32 v12, v12, v13 bitop3:0x14
	s_delay_alu instid0(VALU_DEP_1) | instskip(NEXT) | instid1(VALU_DEP_1)
	v_add_nc_u32_e32 v13, 0x7e95761e, v13
	v_xad_u32 v44, v12, v13, v84
	v_lshl_add_u32 v12, v80, 4, 0xad90777d
	v_add_nc_u32_e32 v13, 0x9e3779b9, v80
	s_delay_alu instid0(VALU_DEP_1) | instskip(SKIP_1) | instid1(VALU_DEP_2)
	v_dual_lshrrev_b32 v82, 5, v44 :: v_dual_bitop2_b32 v12, v12, v13 bitop3:0x14
	v_lshrrev_b32_e32 v13, 5, v80
	v_add_nc_u32_e32 v82, 0xc8013ea4, v82
	s_delay_alu instid0(VALU_DEP_2) | instskip(NEXT) | instid1(VALU_DEP_1)
	v_add_nc_u32_e32 v13, 0x7e95761e, v13
	v_xad_u32 v49, v12, v13, v52
	v_lshl_add_u32 v12, v47, 4, 0xad90777d
	v_add_nc_u32_e32 v13, 0x9e3779b9, v47
	s_delay_alu instid0(VALU_DEP_3) | instskip(NEXT) | instid1(VALU_DEP_2)
	v_lshl_add_u32 v83, v49, 4, 0xa341316c
	v_dual_lshrrev_b32 v13, 5, v47 :: v_dual_bitop2_b32 v12, v12, v13 bitop3:0x14
	s_delay_alu instid0(VALU_DEP_1) | instskip(NEXT) | instid1(VALU_DEP_1)
	v_add_nc_u32_e32 v13, 0x7e95761e, v13
	v_xad_u32 v81, v12, v13, v85
	v_lshl_add_u32 v12, v78, 4, 0xad90777d
	v_add_nc_u32_e32 v13, 0x9e3779b9, v78
	v_lshrrev_b32_e32 v85, 5, v42
	s_delay_alu instid0(VALU_DEP_4) | instskip(NEXT) | instid1(VALU_DEP_3)
	v_lshl_add_u32 v87, v81, 4, 0xa341316c
	v_dual_lshrrev_b32 v13, 5, v78 :: v_dual_bitop2_b32 v12, v12, v13 bitop3:0x14
	s_delay_alu instid0(VALU_DEP_3) | instskip(NEXT) | instid1(VALU_DEP_2)
	v_add_nc_u32_e32 v85, 0xc8013ea4, v85
	v_add_nc_u32_e32 v13, 0x7e95761e, v13
	s_delay_alu instid0(VALU_DEP_1) | instskip(SKIP_1) | instid1(VALU_DEP_1)
	v_xad_u32 v84, v12, v13, v86
	v_pk_mul_f32 v[12:13], v[6:7], v[6:7]
	v_dual_mov_b32 v52, v12 :: v_dual_mov_b32 v12, v13
	v_dual_cndmask_b32 v13, s46, v34, s5 :: v_dual_lshrrev_b32 v34, 5, v88
	v_cmp_neq_f32_e64 s5, |v56|, 1.0
	s_delay_alu instid0(VALU_DEP_2) | instskip(NEXT) | instid1(VALU_DEP_3)
	v_pk_add_f32 v[12:13], v[52:53], v[12:13]
	v_add_nc_u32_e32 v34, 0xc8013ea4, v34
	v_lshl_add_u32 v52, v77, 4, 0xa341316c
	v_add_nc_u32_e32 v53, 0x3c6ef372, v77
	s_delay_alu instid0(VALU_DEP_3) | instskip(NEXT) | instid1(VALU_DEP_1)
	v_dual_lshrrev_b32 v34, 5, v73 :: v_dual_bitop2_b32 v14, v14, v34 bitop3:0x14
	v_add_nc_u32_e32 v34, 0xc8013ea4, v34
	s_delay_alu instid0(VALU_DEP_1) | instskip(SKIP_4) | instid1(VALU_DEP_3)
	v_xor_b32_e32 v45, v51, v34
	v_cndmask_b32_e32 v51, v75, v3, vcc_lo
	v_cndmask_b32_e64 v34, 0x7f800000, 0, s6
	s_xor_b32 s6, s7, s8
	v_cmp_neq_f32_e64 vcc_lo, |v55|, 1.0
	v_dual_add_nc_u32 v75, v14, v51 :: v_dual_max_i32 v51, v3, v74
	s_delay_alu instid0(VALU_DEP_3) | instskip(SKIP_1) | instid1(VALU_DEP_3)
	v_cndmask_b32_e64 v34, 1.0, v34, s5
	v_cndmask_b32_e64 v14, 0x7f800000, 0, s6
	v_lshl_add_u32 v74, v75, 4, 0xad90777d
	s_delay_alu instid0(VALU_DEP_4) | instskip(NEXT) | instid1(VALU_DEP_3)
	v_dual_add_nc_u32 v45, v45, v51 :: v_dual_mov_b32 v51, v48
	v_cndmask_b32_e32 v14, 1.0, v14, vcc_lo
	s_delay_alu instid0(VALU_DEP_2) | instskip(NEXT) | instid1(VALU_DEP_1)
	v_pk_add_f32 v[38:39], v[50:51], v[36:37] neg_lo:[0,1] neg_hi:[0,1]
	v_dual_lshrrev_b32 v51, 5, v75 :: v_dual_sub_f32 v37, v50, v38
	v_add_nc_u32_e32 v50, 0x9e3779b9, v75
	s_delay_alu instid0(VALU_DEP_3)
	v_pk_add_f32 v[38:39], v[40:41], v[38:39] neg_lo:[0,1] neg_hi:[0,1]
	v_lshl_add_u32 v40, v45, 4, 0xad90777d
	v_add_nc_u32_e32 v41, 0x9e3779b9, v45
	v_add_nc_u32_e32 v51, 0x7e95761e, v51
	v_dual_sub_f32 v36, v36, v37 :: v_dual_bitop2_b32 v50, v74, v50 bitop3:0x14
	v_add_nc_u32_e32 v37, 0x3c6ef372, v42
	s_delay_alu instid0(VALU_DEP_4) | instskip(SKIP_1) | instid1(VALU_DEP_4)
	v_xor_b32_e32 v40, v40, v41
	v_lshrrev_b32_e32 v41, 5, v45
	v_xad_u32 v51, v50, v51, v88
	v_lshrrev_b32_e32 v50, 5, v77
	v_lshl_add_u32 v88, v84, 4, 0xa341316c
	s_delay_alu instid0(VALU_DEP_4) | instskip(NEXT) | instid1(VALU_DEP_1)
	v_dual_add_f32 v36, v38, v36 :: v_dual_add_nc_u32 v41, 0x7e95761e, v41
	v_add_f32_e32 v36, v36, v39
	s_delay_alu instid0(VALU_DEP_2)
	v_xad_u32 v74, v40, v41, v73
	v_xor_b32_e32 v40, v52, v53
	v_add_nc_u32_e32 v41, 0xc8013ea4, v50
	v_lshl_add_u32 v73, v42, 4, 0xa341316c
	v_lshl_add_u32 v50, v43, 4, 0xa341316c
	v_lshrrev_b32_e32 v53, 5, v43
	s_delay_alu instid0(VALU_DEP_4)
	v_xad_u32 v86, v40, v41, v89
	v_lshl_add_u32 v40, v44, 4, 0xa341316c
	v_add_nc_u32_e32 v41, 0x3c6ef372, v44
	v_xor_b32_e32 v37, v73, v37
	v_add_nc_u32_e32 v73, 0x3c6ef372, v81
	v_add_nc_u32_e32 v53, 0xc8013ea4, v53
	s_delay_alu instid0(VALU_DEP_4) | instskip(SKIP_1) | instid1(VALU_DEP_4)
	v_xor_b32_e32 v40, v40, v41
	v_add_nc_u32_e32 v41, 0x3c6ef372, v84
	v_xor_b32_e32 v73, v87, v73
	v_xad_u32 v85, v37, v85, v91
	v_lshrrev_b32_e32 v37, 5, v81
	v_xad_u32 v79, v40, v82, v79
	v_xor_b32_e32 v41, v88, v41
	v_lshl_add_u32 v88, v51, 4, 0xa341316c
	v_add_nc_u32_e32 v40, 0x3c6ef372, v51
	v_fma_f32 v87, v13, v13, v12
	v_add_nc_u32_e32 v37, 0xc8013ea4, v37
	s_delay_alu instid0(VALU_DEP_3) | instskip(NEXT) | instid1(VALU_DEP_3)
	v_dual_lshrrev_b32 v82, 5, v51 :: v_dual_bitop2_b32 v40, v88, v40 bitop3:0x14
	v_mul_f32_e32 v38, 0x4f800000, v87
	v_cmp_gt_f32_e32 vcc_lo, 0xf800000, v87
	v_add_nc_u32_e32 v52, 0x3c6ef372, v43
	v_xad_u32 v89, v73, v37, v47
	v_add_nc_u32_e32 v47, 0x3c6ef372, v86
	v_lshrrev_b32_e32 v73, 5, v86
	s_delay_alu instid0(VALU_DEP_4)
	v_dual_cndmask_b32 v39, v87, v38, vcc_lo :: v_dual_bitop2_b32 v50, v50, v52 bitop3:0x14
	v_add_nc_u32_e32 v52, 0x3c6ef372, v49
	v_lshrrev_b32_e32 v37, 5, v74
	v_lshl_add_u32 v87, v85, 4, 0xad90777d
	v_add_nc_u32_e32 v82, 0xc8013ea4, v82
	v_xad_u32 v53, v50, v53, v90
	v_dual_lshrrev_b32 v50, 5, v49 :: v_dual_bitop2_b32 v52, v83, v52 bitop3:0x14
	v_lshrrev_b32_e32 v83, 5, v84
	v_add_nc_u32_e32 v37, 0xc8013ea4, v37
	v_xor_b32_e32 v40, v40, v82
	s_delay_alu instid0(VALU_DEP_4) | instskip(SKIP_3) | instid1(VALU_DEP_3)
	v_add_nc_u32_e32 v50, 0xc8013ea4, v50
	v_add_nc_u32_e32 v88, 0x3c6ef372, v89
	;; [unrolled: 1-line block ×3, first 2 shown]
	v_sqrt_f32_e32 v93, v39
	v_xad_u32 v80, v52, v50, v80
	v_lshl_add_u32 v50, v74, 4, 0xa341316c
	s_delay_alu instid0(VALU_DEP_3) | instskip(SKIP_4) | instid1(VALU_DEP_4)
	v_xad_u32 v78, v41, v83, v78
	v_lshl_add_u32 v41, v86, 4, 0xad90777d
	v_lshrrev_b32_e32 v83, 5, v53
	v_add_nc_u32_e32 v52, 0x3c6ef372, v74
	v_add_nc_u32_e32 v82, 0x3c6ef372, v80
	v_xor_b32_e32 v38, v41, v47
	v_add_nc_u32_e32 v41, 0x7e95761e, v73
	v_lshl_add_u32 v47, v53, 4, 0xad90777d
	v_add_nc_u32_e32 v73, 0x3c6ef372, v53
	v_add_nc_u32_e32 v83, 0x7e95761e, v83
	v_xor_b32_e32 v50, v50, v52
	v_xad_u32 v38, v38, v41, v77
	v_add_nc_u32_e32 v41, 0x3c6ef372, v85
	v_xor_b32_e32 v47, v47, v73
	v_lshl_add_u32 v73, v79, 4, 0xad90777d
	v_dual_add_f32 v52, v46, v76 :: v_dual_lshrrev_b32 v77, 5, v85
	s_delay_alu instid0(VALU_DEP_4) | instskip(NEXT) | instid1(VALU_DEP_4)
	v_xor_b32_e32 v87, v87, v41
	v_xad_u32 v43, v47, v83, v43
	v_add_nc_u32_e32 v47, 0x3c6ef372, v79
	v_lshl_add_u32 v41, v78, 4, 0xad90777d
	v_lshl_add_u32 v83, v80, 4, 0xad90777d
	v_dual_sub_f32 v46, v52, v46 :: v_dual_mul_f32 v92, v33, v52
	s_delay_alu instid0(VALU_DEP_4) | instskip(SKIP_1) | instid1(VALU_DEP_3)
	v_xor_b32_e32 v47, v73, v47
	v_add_nc_u32_e32 v73, 0x3c6ef372, v78
	v_dual_sub_f32 v91, v76, v46 :: v_dual_fma_f32 v76, v33, v52, -v92
	v_add_nc_u32_e32 v52, 0xdaa66d2b, v38
	s_delay_alu instid0(VALU_DEP_3) | instskip(SKIP_4) | instid1(VALU_DEP_3)
	v_xor_b32_e32 v90, v41, v73
	v_lshrrev_b32_e32 v73, 5, v89
	v_dual_add_nc_u32 v40, v40, v75 :: v_dual_bitop2_b32 v37, v50, v37 bitop3:0x14
	v_lshl_add_u32 v50, v89, 4, 0xad90777d
	v_dual_lshrrev_b32 v83, 5, v79 :: v_dual_bitop2_b32 v82, v83, v82 bitop3:0x14
	v_dual_lshrrev_b32 v75, 5, v78 :: v_dual_add_nc_u32 v41, v37, v45
	s_delay_alu instid0(VALU_DEP_3)
	v_xor_b32_e32 v50, v50, v88
	v_lshrrev_b32_e32 v88, 5, v80
	v_add_f32_e32 v37, v48, v36
	v_add_nc_u32_e32 v45, 0x7e95761e, v77
	v_add_nc_u32_e32 v46, 0x7e95761e, v83
	;; [unrolled: 1-line block ×4, first 2 shown]
	v_dual_sub_f32 v48, v37, v48 :: v_dual_add_nc_u32 v75, 0x7e95761e, v75
	v_xad_u32 v45, v87, v45, v42
	v_mul_f32_e32 v73, v54, v37
	v_xad_u32 v42, v47, v46, v44
	v_xad_u32 v44, v82, v77, v49
	v_lshl_add_u32 v49, v38, 4, 0xa341316c
	v_lshl_add_u32 v77, v40, 4, 0xad90777d
	v_lshrrev_b32_e32 v82, 5, v40
	v_xad_u32 v47, v90, v75, v84
	v_lshrrev_b32_e32 v75, 5, v38
	v_add_nc_u32_e32 v84, 0x3c6ef372, v41
	v_lshrrev_b32_e32 v87, 5, v41
	v_xad_u32 v46, v50, v83, v81
	v_add_nc_u32_e32 v81, 0x3c6ef372, v40
	v_lshl_add_u32 v83, v41, 4, 0xad90777d
	v_dual_add_nc_u32 v88, -1, v93 :: v_dual_fmac_f32 v76, v33, v91
	v_dual_sub_f32 v90, v36, v48 :: v_dual_add_nc_u32 v91, 1, v93
	v_dual_fma_f32 v50, v54, v37, -v73 :: v_dual_bitop2_b32 v36, v49, v52 bitop3:0x14
	v_add_nc_u32_e32 v37, 0xc8013ea4, v75
	v_xor_b32_e32 v49, v77, v81
	v_add_nc_u32_e32 v52, 0x7e95761e, v82
	v_xor_b32_e32 v75, v83, v84
	v_add_nc_u32_e32 v77, 0x7e95761e, v87
	v_lshl_add_u32 v81, v43, 4, 0xa341316c
	v_add_nc_u32_e32 v82, 0xdaa66d2b, v43
	v_lshrrev_b32_e32 v83, 5, v43
	v_xad_u32 v48, v36, v37, v86
	v_lshl_add_u32 v84, v45, 4, 0xa341316c
	v_add_nc_u32_e32 v86, 0xdaa66d2b, v45
	v_xad_u32 v36, v49, v52, v51
	v_lshl_add_u32 v52, v42, 4, 0xa341316c
	v_xad_u32 v37, v75, v77, v74
	v_add_nc_u32_e32 v74, 0xdaa66d2b, v42
	v_xor_b32_e32 v49, v81, v82
	v_add_nc_u32_e32 v81, 0xc8013ea4, v83
	v_add_nc_u32_e32 v82, 0xdaa66d2b, v46
	v_xor_b32_e32 v83, v84, v86
	v_lshl_add_u32 v84, v47, 4, 0xa341316c
	v_xor_b32_e32 v52, v52, v74
	v_xad_u32 v49, v49, v81, v53
	v_lshl_add_u32 v81, v46, 4, 0xa341316c
	v_dual_add_f32 v87, v92, v76 :: v_dual_add_nc_u32 v74, 0xdaa66d2b, v47
	v_dual_lshrrev_b32 v51, 5, v45 :: v_dual_lshrrev_b32 v75, 5, v42
	s_delay_alu instid0(VALU_DEP_3) | instskip(NEXT) | instid1(VALU_DEP_3)
	v_xor_b32_e32 v81, v81, v82
	v_xor_b32_e32 v84, v84, v74
	v_fma_f32 v74, -v88, v93, v39
	v_lshl_add_u32 v77, v44, 4, 0xa341316c
	v_add_nc_u32_e32 v53, 0xdaa66d2b, v44
	v_dual_fmac_f32 v50, v54, v90 :: v_dual_add_nc_u32 v75, 0xc8013ea4, v75
	s_delay_alu instid0(VALU_DEP_4) | instskip(SKIP_1) | instid1(VALU_DEP_4)
	v_cmp_ge_f32_e64 s5, 0, v74
	v_fma_f32 v74, -v91, v93, v39
	v_dual_lshrrev_b32 v82, 5, v46 :: v_dual_bitop2_b32 v53, v77, v53 bitop3:0x14
	v_lshrrev_b32_e32 v77, 5, v44
	s_delay_alu instid0(VALU_DEP_4) | instskip(NEXT) | instid1(VALU_DEP_4)
	v_cndmask_b32_e64 v86, v93, v88, s5
	v_cmp_lt_f32_e64 s6, 0, v74
	v_lshrrev_b32_e32 v74, 5, v47
	v_cmp_class_f32_e64 s5, v92, 0x204
	v_add_nc_u32_e32 v77, 0xc8013ea4, v77
	v_xad_u32 v52, v52, v75, v79
	v_lshrrev_b32_e32 v79, 5, v48
	v_add_nc_u32_e32 v90, 0xc8013ea4, v74
	v_dual_sub_f32 v88, v87, v92 :: v_dual_cndmask_b32 v87, v87, v92, s5
	v_add_nc_u32_e32 v51, 0xc8013ea4, v51
	v_xad_u32 v53, v53, v77, v80
	s_delay_alu instid0(VALU_DEP_4)
	v_xad_u32 v75, v84, v90, v78
	v_lshl_add_u32 v77, v48, 4, 0xad90777d
	v_add_nc_u32_e32 v78, 0xdaa66d2b, v48
	v_xad_u32 v51, v83, v51, v85
	v_add_f32_e32 v83, v73, v50
	v_cmp_class_f32_e64 s5, v73, 0x204
	s_delay_alu instid0(VALU_DEP_4) | instskip(SKIP_1) | instid1(VALU_DEP_3)
	v_dual_cndmask_b32 v86, v86, v91, s6 :: v_dual_bitop2_b32 v77, v77, v78 bitop3:0x14
	v_add_nc_u32_e32 v78, 0x7e95761e, v79
	v_dual_sub_f32 v90, v83, v73 :: v_dual_cndmask_b32 v73, v83, v73, s5
	v_lshl_add_u32 v79, v49, 4, 0xad90777d
	v_add_nc_u32_e32 v83, 0xdaa66d2b, v49
	s_delay_alu instid0(VALU_DEP_4)
	v_xad_u32 v91, v77, v78, v38
	v_lshrrev_b32_e32 v38, 5, v49
	v_add_nc_u32_e32 v82, 0xc8013ea4, v82
	v_lshl_add_u32 v80, v37, 4, 0xa341316c
	v_xor_b32_e32 v78, v79, v83
	v_lshl_add_u32 v77, v51, 4, 0xad90777d
	v_add_nc_u32_e32 v38, 0x7e95761e, v38
	v_xad_u32 v74, v81, v82, v89
	v_add_nc_u32_e32 v81, 0xdaa66d2b, v37
	v_add_nc_u32_e32 v79, 0xdaa66d2b, v51
	v_dual_lshrrev_b32 v82, 5, v37 :: v_dual_lshrrev_b32 v89, 5, v36
	v_xad_u32 v83, v78, v38, v43
	v_lshrrev_b32_e32 v38, 5, v51
	s_delay_alu instid0(VALU_DEP_4)
	v_xor_b32_e32 v77, v77, v79
	v_lshl_add_u32 v84, v36, 4, 0xa341316c
	v_add_nc_u32_e32 v85, 0xdaa66d2b, v36
	v_lshl_add_u32 v43, v52, 4, 0xad90777d
	v_add_nc_u32_e32 v38, 0x7e95761e, v38
	v_add_nc_u32_e32 v78, 0xdaa66d2b, v52
	v_dual_sub_f32 v76, v76, v88 :: v_dual_add_nc_u32 v79, 0xdaa66d2b, v53
	v_cmp_neq_f32_e64 s6, 0x7f800000, |v87|
	s_delay_alu instid0(VALU_DEP_4)
	v_xad_u32 v92, v77, v38, v45
	v_lshl_add_u32 v45, v53, 4, 0xad90777d
	v_xor_b32_e32 v77, v80, v81
	v_xor_b32_e32 v80, v84, v85
	;; [unrolled: 1-line block ×3, first 2 shown]
	v_lshl_add_u32 v43, v75, 4, 0xad90777d
	v_dual_cndmask_b32 v76, 0, v76, s6 :: v_dual_bitop2_b32 v79, v45, v79 bitop3:0x14
	v_add_nc_u32_e32 v45, 0xdaa66d2b, v75
	v_add_nc_u32_e32 v85, 0xc8013ea4, v89
	v_cmp_eq_f32_e64 s7, 0x42b17218, v87
	v_lshl_add_u32 v81, v74, 4, 0xad90777d
	v_sub_f32_e32 v50, v50, v90
	v_add_nc_u32_e32 v84, 0xdaa66d2b, v74
	v_dual_lshrrev_b32 v45, 5, v74 :: v_dual_bitop2_b32 v89, v43, v45 bitop3:0x14
	v_xor_b32_e32 v80, v80, v85
	v_mul_f32_e32 v85, 0x37800000, v86
	v_cmp_eq_f32_e64 s5, 0x42b17218, v73
	v_cmp_neq_f32_e64 s6, 0x7f800000, |v73|
	v_cndmask_b32_e64 v88, 0, 0x37000000, s7
	v_lshrrev_b32_e32 v38, 5, v52
	v_add_nc_u32_e32 v82, 0xc8013ea4, v82
	s_delay_alu instid0(VALU_DEP_4)
	v_dual_cndmask_b32 v50, 0, v50, s6 :: v_dual_bitop2_b32 v81, v81, v84 bitop3:0x14
	v_lshrrev_b32_e32 v84, 5, v53
	v_cndmask_b32_e32 v85, v86, v85, vcc_lo
	v_cndmask_b32_e64 v86, 0, 0x37000000, s5
	v_cmp_class_f32_e64 vcc_lo, v39, 0x260
	v_sub_f32_e32 v43, v87, v88
	v_add_nc_u32_e32 v87, 0x7e95761e, v38
	v_add_nc_u32_e32 v84, 0x7e95761e, v84
	;; [unrolled: 1-line block ×3, first 2 shown]
	v_sub_f32_e32 v38, v73, v86
	v_dual_cndmask_b32 v73, v85, v39, vcc_lo :: v_dual_add_f32 v39, v86, v50
	v_dual_lshrrev_b32 v50, 5, v83 :: v_dual_bitop2_b32 v82, v77, v82 bitop3:0x14
	v_dual_add_nc_u32 v40, v80, v40 :: v_dual_lshrrev_b32 v77, 5, v75
	v_xad_u32 v87, v78, v87, v42
	v_xad_u32 v84, v79, v84, v44
	;; [unrolled: 1-line block ×3, first 2 shown]
	v_lshl_add_u32 v42, v91, 4, 0xa341316c
	v_add_nc_u32_e32 v77, 0x7e95761e, v77
	v_add_nc_u32_e32 v44, 0x78dde6e4, v91
	v_dual_add_f32 v45, v88, v76 :: v_dual_lshrrev_b32 v46, 5, v91
	v_dual_mul_f32 v88, 0x3fb8aa3b, v43 :: v_dual_add_nc_u32 v41, v82, v41
	s_delay_alu instid0(VALU_DEP_4) | instskip(NEXT) | instid1(VALU_DEP_4)
	v_xad_u32 v77, v89, v77, v47
	v_xor_b32_e32 v42, v42, v44
	s_delay_alu instid0(VALU_DEP_4)
	v_add_nc_u32_e32 v44, 0xc8013ea4, v46
	v_lshl_add_u32 v46, v83, 4, 0xa341316c
	v_add_nc_u32_e32 v47, 0x78dde6e4, v83
	v_mul_f32_e32 v79, 0x3fb8aa3b, v38
	v_lshl_add_u32 v76, v92, 4, 0xa341316c
	v_add_nc_u32_e32 v78, 0x78dde6e4, v92
	v_lshrrev_b32_e32 v82, 5, v92
	v_lshl_add_u32 v86, v87, 4, 0xa341316c
	v_xad_u32 v80, v42, v44, v48
	v_add_nc_u32_e32 v42, 0x78dde6e4, v87
	v_lshrrev_b32_e32 v44, 5, v87
	v_xor_b32_e32 v46, v46, v47
	v_add_nc_u32_e32 v48, 0xc8013ea4, v50
	v_lshl_add_u32 v47, v84, 4, 0xa341316c
	v_dual_lshrrev_b32 v93, 5, v41 :: v_dual_bitop2_b32 v42, v86, v42 bitop3:0x14
	v_add_nc_u32_e32 v44, 0xc8013ea4, v44
	s_delay_alu instid0(VALU_DEP_4)
	v_xad_u32 v50, v46, v48, v49
	v_add_nc_u32_e32 v46, 0x78dde6e4, v84
	v_dual_lshrrev_b32 v48, 5, v84 :: v_dual_bitop2_b32 v49, v76, v78 bitop3:0x14
	v_add_nc_u32_e32 v78, 0xc8013ea4, v82
	v_lshl_add_u32 v76, v81, 4, 0xa341316c
	v_xad_u32 v52, v42, v44, v52
	v_dual_lshrrev_b32 v44, 5, v77 :: v_dual_bitop2_b32 v46, v47, v46 bitop3:0x14
	v_lshrrev_b32_e32 v96, 5, v40
	v_xad_u32 v51, v49, v78, v51
	v_add_nc_u32_e32 v49, 0x78dde6e4, v81
	v_lshrrev_b32_e32 v78, 5, v81
	v_add_nc_u32_e32 v47, 0xc8013ea4, v48
	v_lshl_add_u32 v82, v77, 4, 0xa341316c
	v_add_nc_u32_e32 v42, 0x78dde6e4, v77
	v_cmp_neq_f32_e32 vcc_lo, 1.0, v73
	v_add_nc_u32_e32 v44, 0xc8013ea4, v44
	v_xad_u32 v53, v46, v47, v53
	v_xor_b32_e32 v46, v76, v49
	v_add_nc_u32_e32 v47, 0xc8013ea4, v78
	v_xor_b32_e32 v42, v82, v42
	v_lshl_add_u32 v86, v41, 4, 0xad90777d
	v_add_nc_u32_e32 v49, 0x78dde6e4, v53
	v_add_nc_u32_e32 v89, 0xdaa66d2b, v41
	v_xad_u32 v76, v46, v47, v74
	v_cndmask_b32_e32 v74, 1.0, v65, vcc_lo
	v_xad_u32 v78, v42, v44, v75
	v_add_nc_u32_e32 v46, 0x78dde6e4, v51
	v_add_nc_u32_e32 v47, 0x78dde6e4, v52
	s_delay_alu instid0(VALU_DEP_4)
	v_dual_mul_f32 v42, 0.5, v74 :: v_dual_add_nc_u32 v75, 0x78dde6e4, v76
	v_cmp_neq_f32_e64 s6, 0, v74
	v_fma_f32 v90, 0x3fb8aa3b, v43, -v88
	v_rndne_f32_e32 v85, v88
	v_lshl_add_u32 v94, v40, 4, 0xad90777d
	v_trunc_f32_e32 v44, v42
	v_add_nc_u32_e32 v95, 0xdaa66d2b, v40
	v_div_scale_f32 v82, vcc_lo, v73, v58, v73
	v_cmp_gt_f32_e64 s10, 0, v74
	s_delay_alu instid0(VALU_DEP_4) | instskip(SKIP_2) | instid1(VALU_DEP_1)
	v_cmp_neq_f32_e64 s5, v44, v42
	v_lshl_add_u32 v42, v80, 4, 0xad90777d
	v_add_nc_u32_e32 v44, 0x78dde6e4, v80
	v_xor_b32_e32 v42, v42, v44
	v_lshrrev_b32_e32 v44, 5, v80
	v_cvt_f32_i32_e32 v80, v80
	s_delay_alu instid0(VALU_DEP_2) | instskip(NEXT) | instid1(VALU_DEP_1)
	v_add_nc_u32_e32 v44, 0x7e95761e, v44
	v_xad_u32 v48, v42, v44, v91
	v_lshl_add_u32 v42, v50, 4, 0xad90777d
	v_add_nc_u32_e32 v44, 0x78dde6e4, v50
	v_add_nc_u32_e32 v91, 0x7e95761e, v96
	s_delay_alu instid0(VALU_DEP_4) | instskip(NEXT) | instid1(VALU_DEP_3)
	v_cvt_f32_u32_e32 v48, v48
	v_dual_lshrrev_b32 v44, 5, v50 :: v_dual_bitop2_b32 v42, v42, v44 bitop3:0x14
	v_cvt_f32_i32_e32 v50, v50
	s_delay_alu instid0(VALU_DEP_2) | instskip(NEXT) | instid1(VALU_DEP_1)
	v_add_nc_u32_e32 v44, 0x7e95761e, v44
	v_xad_u32 v42, v42, v44, v83
	v_lshl_add_u32 v44, v51, 4, 0xad90777d
	v_xor_b32_e32 v83, v86, v89
	v_rndne_f32_e32 v89, v79
	s_delay_alu instid0(VALU_DEP_4) | instskip(NEXT) | instid1(VALU_DEP_4)
	v_cvt_f32_u32_e32 v42, v42
	v_dual_lshrrev_b32 v46, 5, v51 :: v_dual_bitop2_b32 v44, v44, v46 bitop3:0x14
	v_cvt_f32_i32_e32 v51, v51
	v_mul_f32_e32 v80, 0x30000000, v80
	s_delay_alu instid0(VALU_DEP_3) | instskip(NEXT) | instid1(VALU_DEP_1)
	v_add_nc_u32_e32 v46, 0x7e95761e, v46
	v_xad_u32 v44, v44, v46, v92
	v_lshl_add_u32 v46, v52, 4, 0xad90777d
	s_delay_alu instid0(VALU_DEP_1) | instskip(SKIP_1) | instid1(VALU_DEP_2)
	v_dual_lshrrev_b32 v47, 5, v52 :: v_dual_bitop2_b32 v46, v46, v47 bitop3:0x14
	v_cvt_f32_i32_e32 v52, v52
	v_add_nc_u32_e32 v47, 0x7e95761e, v47
	s_delay_alu instid0(VALU_DEP_1) | instskip(SKIP_2) | instid1(VALU_DEP_2)
	v_xad_u32 v46, v46, v47, v87
	v_lshl_add_u32 v47, v53, 4, 0xad90777d
	v_add_nc_u32_e32 v87, 0x7e95761e, v93
	v_xor_b32_e32 v47, v47, v49
	s_delay_alu instid0(VALU_DEP_2) | instskip(SKIP_1) | instid1(VALU_DEP_2)
	v_dual_lshrrev_b32 v49, 5, v53 :: v_dual_bitop2_b32 v87, v83, v87 bitop3:0x14
	v_cvt_f32_i32_e32 v53, v53
	v_add_nc_u32_e32 v49, 0x7e95761e, v49
	s_delay_alu instid0(VALU_DEP_1) | instskip(SKIP_2) | instid1(VALU_DEP_2)
	v_xad_u32 v47, v47, v49, v84
	v_lshl_add_u32 v49, v76, 4, 0xad90777d
	v_cvt_i32_f32_e32 v84, v85
	v_dual_lshrrev_b32 v75, 5, v76 :: v_dual_bitop2_b32 v49, v49, v75 bitop3:0x14
	s_delay_alu instid0(VALU_DEP_1) | instskip(NEXT) | instid1(VALU_DEP_1)
	v_add_nc_u32_e32 v75, 0x7e95761e, v75
	v_xad_u32 v49, v49, v75, v81
	v_div_scale_f32 v81, null, v58, v58, v73
	v_sub_f32_e32 v75, v88, v85
	v_fma_f32 v85, 0x3fb8aa3b, v38, -v79
	v_fmac_f32_e32 v90, 0x32a5705f, v43
	s_delay_alu instid0(VALU_DEP_4) | instskip(SKIP_1) | instid1(VALU_DEP_3)
	v_rcp_f32_e32 v83, v81
	v_dual_sub_f32 v79, v79, v89 :: v_dual_bitop2_b32 v88, v94, v95 bitop3:0x14
	v_fmac_f32_e32 v85, 0x32a5705f, v38
	s_delay_alu instid0(VALU_DEP_3) | instskip(SKIP_1) | instid1(VALU_DEP_3)
	v_dual_add_f32 v86, v75, v90 :: v_dual_cndmask_b32 v75, 1.0, v73, s6
	v_trunc_f32_e32 v90, v74
	v_dual_add_f32 v91, v79, v85 :: v_dual_bitop2_b32 v88, v88, v91 bitop3:0x14
	s_delay_alu instid0(TRANS32_DEP_1) | instskip(NEXT) | instid1(VALU_DEP_4)
	v_fma_f32 v79, -v81, v83, 1.0
	v_exp_f32_e32 v85, v86
	s_delay_alu instid0(VALU_DEP_3)
	v_cmp_eq_f32_e64 s11, v90, v74
	v_frexp_mant_f32_e64 v90, |v75|
	v_add_nc_u32_e32 v86, v87, v37
	v_lshl_add_u32 v37, v78, 4, 0xad90777d
	v_add_nc_u32_e32 v87, v88, v36
	v_dual_fmac_f32 v83, v79, v83 :: v_dual_add_nc_u32 v36, 0x78dde6e4, v78
	v_lshrrev_b32_e32 v79, 5, v78
	v_cmp_gt_f32_e64 s9, 0x3f2aaaab, v90
	v_ldexp_f32 v92, v85, v84
	s_delay_alu instid0(VALU_DEP_4) | instskip(SKIP_4) | instid1(VALU_DEP_3)
	v_xor_b32_e32 v36, v37, v36
	v_cvt_i32_f32_e32 v89, v89
	v_add_nc_u32_e32 v79, 0x7e95761e, v79
	v_cndmask_b32_e64 v37, 1.0, 2.0, s9
	v_cmp_eq_f32_e64 s6, 0, v75
	v_xad_u32 v88, v36, v79, v77
	v_lshl_add_u32 v79, v87, 4, 0xa341316c
	s_delay_alu instid0(VALU_DEP_4) | instskip(SKIP_3) | instid1(VALU_DEP_3)
	v_dual_mul_f32 v90, v90, v37 :: v_dual_add_nc_u32 v37, 0x78dde6e4, v87
	v_lshl_add_u32 v36, v86, 4, 0xa341316c
	v_add_nc_u32_e32 v77, 0x78dde6e4, v86
	s_xor_b32 s10, s10, s6
	v_dual_lshrrev_b32 v79, 5, v87 :: v_dual_bitop2_b32 v37, v79, v37 bitop3:0x14
	s_delay_alu instid0(VALU_DEP_1) | instskip(NEXT) | instid1(VALU_DEP_1)
	v_add_nc_u32_e32 v79, 0xc8013ea4, v79
	v_xor_b32_e32 v37, v37, v79
	v_dual_lshrrev_b32 v77, 5, v86 :: v_dual_bitop2_b32 v36, v36, v77 bitop3:0x14
	s_delay_alu instid0(VALU_DEP_2) | instskip(NEXT) | instid1(VALU_DEP_2)
	v_add_nc_u32_e32 v40, v37, v40
	v_add_nc_u32_e32 v77, 0xc8013ea4, v77
	s_delay_alu instid0(VALU_DEP_2) | instskip(NEXT) | instid1(VALU_DEP_2)
	v_add_nc_u32_e32 v84, 0x78dde6e4, v40
	v_dual_mul_f32 v77, v82, v83 :: v_dual_bitop2_b32 v36, v36, v77 bitop3:0x14
	s_delay_alu instid0(VALU_DEP_1) | instskip(NEXT) | instid1(VALU_DEP_2)
	v_add_nc_u32_e32 v36, v36, v41
	v_fma_f32 v79, -v81, v77, v82
	s_delay_alu instid0(VALU_DEP_2) | instskip(NEXT) | instid1(VALU_DEP_2)
	v_cvt_f32_i32_e32 v37, v36
	v_fmac_f32_e32 v77, v79, v83
	v_lshl_add_u32 v79, v36, 4, 0xad90777d
	s_delay_alu instid0(VALU_DEP_2)
	v_fma_f32 v41, -v81, v77, v82
	v_add_nc_u32_e32 v81, 0x78dde6e4, v36
	v_lshrrev_b32_e32 v82, 5, v36
	v_lshrrev_b32_e32 v85, 5, v40
	v_cvt_f32_i32_e32 v36, v40
	v_div_fmas_f32 v83, v41, v83, v77
	v_xor_b32_e32 v79, v79, v81
	v_add_nc_u32_e32 v81, 0x7e95761e, v82
	v_cmp_ngt_f32_e32 vcc_lo, 0xc2ce8ed0, v43
	v_lshl_add_u32 v77, v40, 4, 0xad90777d
	v_add_nc_u32_e32 v82, 0x7e95761e, v85
	v_pk_mul_f32 v[40:41], v[36:37], s[22:23] op_sel_hi:[1,0]
	v_xad_u32 v81, v79, v81, v86
	v_cvt_f32_i32_e32 v86, v76
	v_cndmask_b32_e32 v76, 0, v92, vcc_lo
	v_cmp_nlt_f32_e32 vcc_lo, 0x42b17218, v43
	v_exp_f32_e32 v43, v91
	v_and_b32_e32 v37, 0x7fffffff, v41
	v_and_b32_e32 v36, 0x7fffffff, v40
	v_cndmask_b32_e64 v92, 0x7f800000, 0, s10
	v_cndmask_b32_e32 v76, 0x7f800000, v76, vcc_lo
	v_xor_b32_e32 v77, v77, v84
	v_cvt_f32_u32_e32 v81, v81
	v_ldexp_f32 v43, v43, v89
	v_pk_mul_f32 v[84:85], v[36:37], 0.5 op_sel_hi:[1,0]
	v_fma_f32 v45, v76, v45, v76
	v_cmp_class_f32_e64 vcc_lo, v76, 0x204
	v_xad_u32 v82, v77, v82, v87
	v_cvt_f32_i32_e32 v87, v78
	v_mul_f32_e32 v50, 0x30000000, v50
	v_dual_mul_f32 v78, 0x30000000, v53 :: v_dual_cndmask_b32 v91, v45, v76
	v_dual_mul_f32 v76, 0x30000000, v52 :: v_dual_mul_f32 v53, 0x30000000, v86
	s_and_b32 vcc_lo, s11, s5
	v_mul_f32_e32 v45, 0x30000000, v51
	s_delay_alu instid0(VALU_DEP_3)
	v_bfi_b32 v52, 0x7fffffff, v91, v71
	v_cndmask_b32_e32 v91, 0, v75, vcc_lo
	v_mul_f32_e64 v93, |v80|, 0.5
	v_mul_f32_e32 v51, 0x30000000, v87
	v_add_f32_e32 v87, -1.0, v90
	v_cndmask_b32_e64 v71, 0x7fc00000, v52, s2
	v_cmp_gt_f32_e64 s2, 0, v56
	v_mul_f32_e64 v94, |v45|, 0.5
	v_fract_f32_e32 v77, v85
	v_fract_f32_e32 v79, v84
	v_cmp_neq_f32_e64 s7, 0x7f800000, v85
	v_cndmask_b32_e64 v52, v52, v71, s2
	v_cmp_class_f32_e64 s2, v33, 0x204
	v_cndmask_b32_e32 v71, 1.0, v75, vcc_lo
	s_or_b32 vcc_lo, s1, s12
	v_cmp_ngt_f32_e64 s1, 0xc2ce8ed0, v38
	v_cmp_neq_f32_e64 s8, 0x7f800000, v84
	v_cndmask_b32_e64 v34, v52, v34, s2
	v_cmp_neq_f32_e64 s2, 0x7f800000, v93
	v_cvt_f64_f32_e64 v[84:85], |v75|
	v_cndmask_b32_e64 v43, 0, v43, s1
	v_cmp_nlt_f32_e64 s1, 0x42b17218, v38
	v_cndmask_b32_e32 v52, v34, v72, vcc_lo
	v_cmp_o_f32_e32 vcc_lo, v56, v33
	v_add_f32_e32 v56, 1.0, v90
	v_fract_f32_e32 v34, v93
	v_cndmask_b32_e64 v43, 0x7f800000, v43, s1
	v_mul_f32_e64 v33, |v50|, 0.5
	v_cvt_f32_u32_e32 v82, v82
	s_delay_alu instid0(VALU_DEP_4) | instskip(NEXT) | instid1(VALU_DEP_4)
	v_dual_add_f32 v38, -1.0, v56 :: v_dual_add_f32 v34, v34, v34
	v_cmp_class_f32_e64 s1, v43, 0x204
	v_cmp_gt_f32_e64 s19, |v80|, 1.0
	s_delay_alu instid0(VALU_DEP_4) | instskip(NEXT) | instid1(VALU_DEP_4)
	v_mul_f32_e32 v82, 0x2f800000, v82
	v_dual_sub_f32 v72, v90, v38 :: v_dual_fma_f32 v38, v43, v39, v43
	v_cndmask_b32_e64 v34, 0, v34, s2
	v_cmp_neq_f32_e64 s5, 0x7f800000, v94
	v_dual_add_f32 v77, v77, v77 :: v_dual_add_f32 v79, v79, v79
	s_delay_alu instid0(VALU_DEP_4) | instskip(SKIP_3) | instid1(VALU_DEP_4)
	v_cndmask_b32_e64 v38, v38, v43, s1
	v_cmp_gt_f32_e64 s1, 0, v55
	v_cndmask_b32_e64 v34, |v80|, v34, s19
	v_cmp_class_f32_e64 s19, v80, 0x1f8
	v_bfi_b32 v38, 0x7fffffff, v38, v59
	v_mul_f32_e64 v59, |v53|, 0.5
	s_delay_alu instid0(VALU_DEP_2) | instskip(SKIP_1) | instid1(VALU_DEP_3)
	v_cndmask_b32_e64 v39, 0x7fc00000, v38, s4
	v_cmp_neq_f32_e64 s4, 0x7f800000, v33
	v_cmp_neq_f32_e64 s12, 0x7f800000, v59
	s_delay_alu instid0(VALU_DEP_3)
	v_cndmask_b32_e64 v38, v38, v39, s1
	v_rcp_f32_e32 v39, v56
	v_cmp_class_f32_e64 s1, v54, 0x204
	s_delay_alu instid0(TRANS32_DEP_1) | instid1(VALU_DEP_1)
	v_dual_cndmask_b32 v14, v38, v14, s1 :: v_dual_mul_f32 v38, v87, v39
	s_or_b32 s1, s3, s13
	s_delay_alu instid0(VALU_DEP_1) | instid1(SALU_CYCLE_1)
	v_cndmask_b32_e64 v43, v14, v57, s1
	v_cmp_o_f32_e64 s1, v55, v54
	s_delay_alu instid0(VALU_DEP_3) | instskip(SKIP_1) | instid1(VALU_DEP_2)
	v_mul_f32_e32 v54, v56, v38
	v_mul_f32_e64 v14, |v76|, 0.5
	v_fma_f32 v56, v38, v56, -v54
	s_delay_alu instid0(VALU_DEP_2) | instskip(NEXT) | instid1(VALU_DEP_2)
	v_cmp_neq_f32_e64 s10, 0x7f800000, v14
	v_fmac_f32_e32 v56, v38, v72
	v_bfi_b32 v72, 0x7fffffff, v92, v91
	s_delay_alu instid0(VALU_DEP_2) | instskip(NEXT) | instid1(VALU_DEP_1)
	v_add_f32_e32 v86, v54, v56
	v_dual_sub_f32 v55, v87, v86 :: v_dual_mov_b32 v57, v86
	s_delay_alu instid0(VALU_DEP_1) | instskip(SKIP_1) | instid1(VALU_DEP_2)
	v_pk_add_f32 v[86:87], v[86:87], v[54:55] neg_lo:[0,1] neg_hi:[0,1]
	v_mul_f32_e64 v54, |v78|, 0.5
	v_pk_add_f32 v[56:57], v[86:87], v[56:57] neg_lo:[0,1] neg_hi:[0,1]
	v_fract_f32_e32 v87, v33
	v_fract_f32_e32 v33, v94
	v_mul_f32_e64 v86, |v51|, 0.5
	v_cmp_neq_f32_e64 s11, 0x7f800000, v54
	s_delay_alu instid0(VALU_DEP_3) | instskip(SKIP_3) | instid1(VALU_DEP_2)
	v_dual_add_f32 v87, v87, v87 :: v_dual_add_f32 v89, v33, v33
	v_fract_f32_e32 v33, v14
	v_fract_f32_e32 v14, v54
	v_cmp_neq_f32_e64 s3, 0x7f800000, v86
	v_dual_add_f32 v90, v33, v33 :: v_dual_add_f32 v91, v14, v14
	v_fract_f32_e32 v14, v59
	s_delay_alu instid0(VALU_DEP_1) | instskip(SKIP_1) | instid1(VALU_DEP_2)
	v_dual_mul_f32 v33, 0x2f800000, v48 :: v_dual_add_f32 v54, v14, v14
	v_fract_f32_e32 v14, v86
	v_cmp_gt_f32_e64 s13, 0x800000, v33
	v_mul_f32_e32 v86, 0x2f800000, v42
	v_frexp_exp_i32_f64_e32 v42, v[84:85]
	s_delay_alu instid0(VALU_DEP_4) | instskip(NEXT) | instid1(VALU_DEP_4)
	v_add_f32_e32 v59, v14, v14
	v_cndmask_b32_e64 v14, 0, 32, s13
	s_delay_alu instid0(VALU_DEP_4) | instskip(NEXT) | instid1(VALU_DEP_3)
	v_cmp_gt_f32_e64 s17, 0x800000, v86
	v_cndmask_b32_e64 v59, 0, v59, s3
	s_delay_alu instid0(VALU_DEP_3) | instskip(SKIP_2) | instid1(VALU_DEP_3)
	v_ldexp_f32 v14, v33, v14
	v_and_b32_e32 v33, 0x7fffffff, v80
	v_cmp_gt_f32_e64 s3, |v51|, 1.0
	v_log_f32_e32 v14, v14
	s_delay_alu instid0(VALU_DEP_2)
	v_xor_b32_e32 v48, v33, v80
	v_cvt_f32_u32_e32 v33, v44
	v_cvt_f32_u32_e32 v44, v46
	;; [unrolled: 1-line block ×5, first 2 shown]
	s_delay_alu instid0(VALU_DEP_4) | instskip(NEXT) | instid1(VALU_DEP_3)
	v_dual_mul_f32 v33, 0x2f800000, v33 :: v_dual_mul_f32 v44, 0x2f800000, v44
	v_dual_mul_f32 v46, 0x2f800000, v46 :: v_dual_mul_f32 v47, 0x2f800000, v47
	s_delay_alu instid0(VALU_DEP_3) | instskip(NEXT) | instid1(VALU_DEP_3)
	v_mul_f32_e32 v49, 0x2f800000, v49
	v_cmp_gt_f32_e64 s2, 0x800000, v33
	s_delay_alu instid0(VALU_DEP_4) | instskip(NEXT) | instid1(VALU_DEP_4)
	v_cmp_gt_f32_e64 s14, 0x800000, v44
	v_cmp_gt_f32_e64 s15, 0x800000, v46
	;; [unrolled: 1-line block ×4, first 2 shown]
	v_cndmask_b32_e64 v84, 0, 32, s2
	v_cndmask_b32_e64 v59, |v51|, v59, s3
	v_subrev_co_ci_u32_e64 v42, null, 0, v42, s9
	s_delay_alu instid0(VALU_DEP_3) | instskip(SKIP_1) | instid1(VALU_DEP_3)
	v_ldexp_f32 v84, v33, v84
	v_cndmask_b32_e64 v33, 0, 32, s14
	v_cvt_f32_i32_e32 v80, v42
	s_delay_alu instid0(VALU_DEP_2) | instskip(SKIP_1) | instid1(VALU_DEP_1)
	v_ldexp_f32 v44, v44, v33
	v_cndmask_b32_e64 v33, 0, 32, s15
	v_ldexp_f32 v46, v46, v33
	v_cndmask_b32_e64 v33, 0, 32, s16
	s_delay_alu instid0(VALU_DEP_1) | instskip(SKIP_1) | instid1(VALU_DEP_1)
	v_ldexp_f32 v47, v47, v33
	v_cndmask_b32_e64 v33, 0, 32, s17
	v_ldexp_f32 v85, v86, v33
	v_cndmask_b32_e64 v33, 0, 32, s18
	s_delay_alu instid0(VALU_DEP_1) | instskip(SKIP_1) | instid1(VALU_DEP_2)
	v_ldexp_f32 v49, v49, v33
	v_cndmask_b32_e64 v33, 0, 0x42000000, s13
	v_log_f32_e32 v49, v49
	s_delay_alu instid0(VALU_DEP_1)
	v_sub_f32_e32 v86, v14, v33
	v_xor_b32_e32 v33, v37, v41
	v_log_f32_e32 v37, v84
	v_xor_b32_e32 v14, v36, v40
	v_cndmask_b32_e64 v36, 0, 0x42000000, s2
	s_delay_alu instid0(TRANS32_DEP_1) | instid1(VALU_DEP_1)
	v_sub_f32_e32 v84, v37, v36
	v_log_f32_e32 v37, v44
	v_cndmask_b32_e64 v36, 0, 0x42000000, s14
	s_delay_alu instid0(TRANS32_DEP_1) | instid1(VALU_DEP_1)
	v_sub_f32_e32 v44, v37, v36
	v_log_f32_e32 v37, v46
	v_cndmask_b32_e64 v36, 0, 0x42000000, s15
	s_delay_alu instid0(VALU_DEP_2)
	v_mul_f32_e32 v44, 0xbfb17218, v44
	s_delay_alu instid0(TRANS32_DEP_1) | instid1(VALU_DEP_2)
	v_sub_f32_e32 v46, v37, v36
	v_log_f32_e32 v37, v47
	v_cndmask_b32_e64 v36, 0, 0x42000000, s16
	v_cndmask_b32_e64 v47, 0, 0x42000000, s18
	s_delay_alu instid0(VALU_DEP_3)
	v_mul_f32_e32 v46, 0xbfb17218, v46
	s_delay_alu instid0(TRANS32_DEP_1) | instid1(VALU_DEP_3)
	v_sub_f32_e32 v88, v37, v36
	v_log_f32_e32 v37, v85
	v_cndmask_b32_e64 v36, 0, 0x42000000, s17
	s_delay_alu instid0(VALU_DEP_2)
	v_mul_f32_e32 v88, 0xbfb17218, v88
	s_delay_alu instid0(TRANS32_DEP_1) | instid1(VALU_DEP_2)
	v_dual_sub_f32 v85, v37, v36 :: v_dual_add_f32 v36, v34, v34
	v_add_f32_e32 v37, v56, v57
	v_div_fixup_f32 v56, v83, v58, v73
	v_sub_f32_e32 v83, v49, v47
	v_and_b32_e32 v49, 0x7fffffff, v50
	v_rndne_f32_e32 v57, v36
	v_add_f32_e32 v55, v55, v37
	v_cvt_f64_f32_e32 v[36:37], v56
	v_dual_mul_f32 v86, 0xbfb17218, v86 :: v_dual_mul_f32 v85, 0xbfb17218, v85
	s_delay_alu instid0(VALU_DEP_4) | instskip(NEXT) | instid1(VALU_DEP_4)
	v_dual_fmac_f32 v34, -0.5, v57 :: v_dual_bitop2_b32 v49, v49, v50 bitop3:0x14
	v_dual_mul_f32 v39, v39, v55 :: v_dual_mul_f32 v84, 0xbfb17218, v84
	v_mul_f32_e32 v83, 0xbfb17218, v83
	s_delay_alu instid0(VALU_DEP_3) | instskip(SKIP_2) | instid1(VALU_DEP_4)
	v_mul_f32_e32 v47, v34, v34
	v_cmp_gt_f32_e64 s13, 0xf800000, v88
	v_cmp_gt_f32_e64 s15, 0xf800000, v85
	;; [unrolled: 1-line block ×3, first 2 shown]
	v_cmp_nle_f64_e64 s2, s[48:49], v[36:37]
	v_dual_fmaak_f32 v36, s61, v47, 0xbf1f24be :: v_dual_mul_f32 v37, v34, v47
	s_delay_alu instid0(VALU_DEP_1) | instskip(NEXT) | instid1(VALU_DEP_1)
	v_fmaak_f32 v36, v47, v36, 0x40234736
	v_fmaak_f32 v36, v47, v36, 0xc0a55e0e
	s_delay_alu instid0(VALU_DEP_1) | instskip(SKIP_1) | instid1(VALU_DEP_2)
	v_dual_mul_f32 v36, v37, v36 :: v_dual_cndmask_b32 v37, 0, v87, s4
	v_cmp_gt_f32_e64 s4, |v50|, 1.0
	v_fmac_f32_e32 v36, 0x40490fdb, v34
	v_fmaak_f32 v34, s62, v47, 0x3e642e9d
	s_delay_alu instid0(VALU_DEP_3) | instskip(SKIP_2) | instid1(VALU_DEP_4)
	v_cndmask_b32_e64 v87, |v50|, v37, s4
	v_cvt_i32_f32_e32 v37, v57
	v_cndmask_b32_e64 v57, 0, v89, s5
	v_fmaak_f32 v34, v47, v34, 0xbfaad1da
	s_delay_alu instid0(VALU_DEP_1) | instskip(NEXT) | instid1(VALU_DEP_1)
	v_fmaak_f32 v34, v47, v34, 0x4081e0d3
	v_fmaak_f32 v34, v47, v34, 0xc09de9e6
	s_delay_alu instid0(VALU_DEP_1) | instskip(SKIP_1) | instid1(VALU_DEP_1)
	v_fma_f32 v34, v47, v34, 1.0
	v_dual_lshlrev_b32 v37, 30, v37 :: v_dual_bitop2_b32 v47, 1, v37 bitop3:0x40
	v_cmp_eq_u32_e64 s4, 0, v47
	v_add_f32_e32 v47, v87, v87
	s_delay_alu instid0(VALU_DEP_3) | instskip(NEXT) | instid1(VALU_DEP_3)
	v_and_b32_e32 v37, 0x80000000, v37
	v_cndmask_b32_e64 v34, v34, v36, s4
	s_delay_alu instid0(VALU_DEP_3) | instskip(SKIP_1) | instid1(VALU_DEP_3)
	v_rndne_f32_e32 v47, v47
	v_cmp_gt_f32_e64 s4, |v45|, 1.0
	v_xor3_b32 v37, v48, v37, v34
	s_delay_alu instid0(VALU_DEP_3) | instskip(SKIP_1) | instid1(VALU_DEP_4)
	v_fmac_f32_e32 v87, -0.5, v47
	v_cvt_i32_f32_e32 v47, v47
	v_cndmask_b32_e64 v57, |v45|, v57, s4
	s_delay_alu instid0(VALU_DEP_4) | instskip(NEXT) | instid1(VALU_DEP_4)
	v_cndmask_b32_e64 v37, 0x7fc00000, v37, s19
	v_mul_f32_e32 v36, v87, v87
	s_delay_alu instid0(VALU_DEP_1) | instskip(SKIP_1) | instid1(VALU_DEP_2)
	v_fmaak_f32 v34, s61, v36, 0xbf1f24be
	v_mul_f32_e32 v48, v87, v36
	v_fmaak_f32 v34, v36, v34, 0x40234736
	s_delay_alu instid0(VALU_DEP_1) | instskip(NEXT) | instid1(VALU_DEP_1)
	v_fmaak_f32 v34, v36, v34, 0xc0a55e0e
	v_mul_f32_e32 v34, v48, v34
	v_and_b32_e32 v48, 0x7fffffff, v45
	s_delay_alu instid0(VALU_DEP_2) | instskip(SKIP_1) | instid1(VALU_DEP_1)
	v_fmac_f32_e32 v34, 0x40490fdb, v87
	v_fmaak_f32 v87, s62, v36, 0x3e642e9d
	v_fmaak_f32 v87, v36, v87, 0xbfaad1da
	s_delay_alu instid0(VALU_DEP_1) | instskip(NEXT) | instid1(VALU_DEP_1)
	v_fmaak_f32 v87, v36, v87, 0x4081e0d3
	v_fmaak_f32 v87, v36, v87, 0xc09de9e6
	s_delay_alu instid0(VALU_DEP_1) | instskip(SKIP_1) | instid1(VALU_DEP_1)
	v_fma_f32 v36, v36, v87, 1.0
	v_dual_lshlrev_b32 v47, 30, v47 :: v_dual_bitop2_b32 v87, 1, v47 bitop3:0x40
	v_cmp_eq_u32_e64 s4, 0, v87
	s_delay_alu instid0(VALU_DEP_1) | instskip(NEXT) | instid1(VALU_DEP_1)
	v_dual_add_f32 v87, v57, v57 :: v_dual_cndmask_b32 v34, v36, v34, s4
	v_rndne_f32_e32 v87, v87
	s_delay_alu instid0(VALU_DEP_4) | instskip(SKIP_1) | instid1(VALU_DEP_3)
	v_and_b32_e32 v36, 0x80000000, v47
	v_cmp_gt_f32_e64 s4, |v76|, 1.0
	v_fmac_f32_e32 v57, -0.5, v87
	s_delay_alu instid0(VALU_DEP_3) | instskip(SKIP_2) | instid1(VALU_DEP_4)
	v_xor3_b32 v36, v49, v36, v34
	v_cvt_i32_f32_e32 v87, v87
	v_and_b32_e32 v49, 0x7fffffff, v76
	v_mul_f32_e32 v89, v57, v57
	s_delay_alu instid0(VALU_DEP_2) | instskip(NEXT) | instid1(VALU_DEP_2)
	v_xor_b32_e32 v49, v49, v76
	v_dual_fmaak_f32 v34, s61, v89, 0xbf1f24be :: v_dual_mul_f32 v47, v57, v89
	s_delay_alu instid0(VALU_DEP_1) | instskip(NEXT) | instid1(VALU_DEP_1)
	v_fmaak_f32 v34, v89, v34, 0x40234736
	v_fmaak_f32 v34, v89, v34, 0xc0a55e0e
	s_delay_alu instid0(VALU_DEP_1) | instskip(SKIP_2) | instid1(VALU_DEP_3)
	v_dual_mul_f32 v34, v47, v34 :: v_dual_bitop2_b32 v47, v48, v45 bitop3:0x14
	v_dual_cndmask_b32 v48, 0, v90, s10 :: v_dual_cndmask_b32 v90, 0, v91, s11
	v_cmp_gt_f32_e64 s11, 0xf800000, v44
	v_fmac_f32_e32 v34, 0x40490fdb, v57
	v_fmaak_f32 v57, s62, v89, 0x3e642e9d
	s_delay_alu instid0(VALU_DEP_4) | instskip(SKIP_1) | instid1(VALU_DEP_3)
	v_cndmask_b32_e64 v48, |v76|, v48, s4
	v_cmp_gt_f32_e64 s10, 0xf800000, v84
	v_fmaak_f32 v57, v89, v57, 0xbfaad1da
	s_delay_alu instid0(VALU_DEP_1) | instskip(NEXT) | instid1(VALU_DEP_1)
	v_fmaak_f32 v57, v89, v57, 0x4081e0d3
	v_fmaak_f32 v57, v89, v57, 0xc09de9e6
	s_delay_alu instid0(VALU_DEP_1) | instskip(SKIP_1) | instid1(VALU_DEP_1)
	v_fma_f32 v57, v89, v57, 1.0
	v_dual_lshlrev_b32 v87, 30, v87 :: v_dual_bitop2_b32 v89, 1, v87 bitop3:0x40
	v_cmp_eq_u32_e64 s4, 0, v89
	v_add_f32_e32 v89, v48, v48
	s_delay_alu instid0(VALU_DEP_3) | instskip(NEXT) | instid1(VALU_DEP_3)
	v_and_b32_e32 v87, 0x80000000, v87
	v_cndmask_b32_e64 v34, v57, v34, s4
	s_delay_alu instid0(VALU_DEP_3) | instskip(SKIP_1) | instid1(VALU_DEP_3)
	v_rndne_f32_e32 v89, v89
	v_cmp_gt_f32_e64 s4, |v78|, 1.0
	v_xor3_b32 v47, v47, v87, v34
	s_delay_alu instid0(VALU_DEP_3) | instskip(SKIP_1) | instid1(VALU_DEP_4)
	v_fmac_f32_e32 v48, -0.5, v89
	v_cvt_i32_f32_e32 v89, v89
	v_cndmask_b32_e64 v90, |v78|, v90, s4
	s_delay_alu instid0(VALU_DEP_3) | instskip(NEXT) | instid1(VALU_DEP_1)
	v_mul_f32_e32 v57, v48, v48
	v_dual_fmaak_f32 v34, s61, v57, 0xbf1f24be :: v_dual_mul_f32 v87, v48, v57
	s_delay_alu instid0(VALU_DEP_1) | instskip(NEXT) | instid1(VALU_DEP_1)
	v_fmaak_f32 v34, v57, v34, 0x40234736
	v_fmaak_f32 v34, v57, v34, 0xc0a55e0e
	s_delay_alu instid0(VALU_DEP_1) | instskip(SKIP_1) | instid1(VALU_DEP_2)
	v_mul_f32_e32 v34, v87, v34
	v_and_b32_e32 v87, 0x7fffffff, v78
	v_fmac_f32_e32 v34, 0x40490fdb, v48
	v_fmaak_f32 v48, s62, v57, 0x3e642e9d
	s_delay_alu instid0(VALU_DEP_1) | instskip(NEXT) | instid1(VALU_DEP_1)
	v_fmaak_f32 v48, v57, v48, 0xbfaad1da
	v_fmaak_f32 v48, v57, v48, 0x4081e0d3
	s_delay_alu instid0(VALU_DEP_1) | instskip(NEXT) | instid1(VALU_DEP_1)
	v_fmaak_f32 v48, v57, v48, 0xc09de9e6
	v_fma_f32 v48, v57, v48, 1.0
	v_dual_lshlrev_b32 v89, 30, v89 :: v_dual_bitop2_b32 v57, 1, v89 bitop3:0x40
	s_delay_alu instid0(VALU_DEP_1) | instskip(SKIP_1) | instid1(VALU_DEP_2)
	v_cmp_eq_u32_e64 s4, 0, v57
	v_add_f32_e32 v57, v90, v90
	v_cndmask_b32_e64 v34, v48, v34, s4
	s_delay_alu instid0(VALU_DEP_2) | instskip(SKIP_3) | instid1(VALU_DEP_4)
	v_rndne_f32_e32 v57, v57
	v_and_b32_e32 v48, 0x80000000, v89
	v_cmp_gt_f32_e64 s4, |v53|, 1.0
	v_and_b32_e32 v89, 0x7fffffff, v53
	v_fmac_f32_e32 v90, -0.5, v57
	s_delay_alu instid0(VALU_DEP_4) | instskip(SKIP_4) | instid1(VALU_DEP_1)
	v_xor3_b32 v48, v49, v48, v34
	v_cvt_i32_f32_e32 v57, v57
	v_cndmask_b32_e64 v54, 0, v54, s12
	v_cmp_gt_f32_e64 s12, 0xf800000, v46
	v_dual_mul_f32 v91, v90, v90 :: v_dual_bitop2_b32 v89, v89, v53 bitop3:0x14
	v_dual_fmaak_f32 v34, s61, v91, 0xbf1f24be :: v_dual_mul_f32 v49, v90, v91
	s_delay_alu instid0(VALU_DEP_1) | instskip(NEXT) | instid1(VALU_DEP_1)
	v_fmaak_f32 v34, v91, v34, 0x40234736
	v_fmaak_f32 v34, v91, v34, 0xc0a55e0e
	s_delay_alu instid0(VALU_DEP_1) | instskip(SKIP_2) | instid1(VALU_DEP_3)
	v_mul_f32_e32 v34, v49, v34
	v_xor_b32_e32 v49, v87, v78
	v_fmaak_f32 v87, s62, v91, 0x3e642e9d
	v_fmac_f32_e32 v34, 0x40490fdb, v90
	v_and_b32_e32 v90, 1, v57
	v_cndmask_b32_e64 v54, |v53|, v54, s4
	s_delay_alu instid0(VALU_DEP_4) | instskip(SKIP_1) | instid1(VALU_DEP_4)
	v_fmaak_f32 v87, v91, v87, 0xbfaad1da
	v_lshlrev_b32_e32 v57, 30, v57
	v_cmp_eq_u32_e64 s4, 0, v90
	s_delay_alu instid0(VALU_DEP_3) | instskip(NEXT) | instid1(VALU_DEP_3)
	v_dual_add_f32 v90, v54, v54 :: v_dual_fmaak_f32 v87, v91, v87, 0x4081e0d3
	v_and_b32_e32 v57, 0x80000000, v57
	s_delay_alu instid0(VALU_DEP_2) | instskip(NEXT) | instid1(VALU_DEP_1)
	v_rndne_f32_e32 v90, v90
	v_dual_fmaak_f32 v87, v91, v87, 0xc09de9e6 :: v_dual_fmac_f32 v54, -0.5, v90
	s_delay_alu instid0(VALU_DEP_1) | instskip(SKIP_2) | instid1(VALU_DEP_3)
	v_fma_f32 v87, v91, v87, 1.0
	v_cvt_i32_f32_e32 v90, v90
	v_mul_f32_e32 v81, 0x2f800000, v81
	v_cndmask_b32_e64 v34, v87, v34, s4
	v_mul_f32_e32 v87, v54, v54
	v_cmp_gt_f32_e64 s4, 0x800000, v82
	s_delay_alu instid0(VALU_DEP_3) | instskip(NEXT) | instid1(VALU_DEP_3)
	v_xor3_b32 v49, v49, v57, v34
	v_dual_fmaak_f32 v34, s61, v87, 0xbf1f24be :: v_dual_mul_f32 v57, v54, v87
	s_delay_alu instid0(VALU_DEP_1) | instskip(NEXT) | instid1(VALU_DEP_1)
	v_fmaak_f32 v34, v87, v34, 0x40234736
	v_fmaak_f32 v34, v87, v34, 0xc0a55e0e
	s_delay_alu instid0(VALU_DEP_1) | instskip(SKIP_1) | instid1(VALU_DEP_2)
	v_mul_f32_e32 v34, v57, v34
	v_and_b32_e32 v57, 0x7fffffff, v51
	v_fmac_f32_e32 v34, 0x40490fdb, v54
	v_fmaak_f32 v54, s62, v87, 0x3e642e9d
	s_delay_alu instid0(VALU_DEP_1) | instskip(NEXT) | instid1(VALU_DEP_1)
	v_fmaak_f32 v54, v87, v54, 0xbfaad1da
	v_fmaak_f32 v54, v87, v54, 0x4081e0d3
	s_delay_alu instid0(VALU_DEP_1) | instskip(NEXT) | instid1(VALU_DEP_1)
	v_fmaak_f32 v54, v87, v54, 0xc09de9e6
	v_fma_f32 v54, v87, v54, 1.0
	v_dual_lshlrev_b32 v90, 30, v90 :: v_dual_bitop2_b32 v87, 1, v90 bitop3:0x40
	v_cmp_gt_f32_e64 s5, 0x800000, v81
	s_delay_alu instid0(VALU_DEP_2) | instskip(SKIP_1) | instid1(VALU_DEP_4)
	v_cmp_eq_u32_e64 s3, 0, v87
	v_xor_b32_e32 v57, v57, v51
	v_and_b32_e32 v90, 0x80000000, v90
	s_delay_alu instid0(VALU_DEP_3) | instskip(SKIP_2) | instid1(VALU_DEP_3)
	v_dual_add_f32 v87, v59, v59 :: v_dual_cndmask_b32 v34, v54, v34, s3
	v_mul_f32_e32 v54, 0x4f800000, v86
	v_cmp_gt_f32_e64 s3, 0xf800000, v86
	v_rndne_f32_e32 v87, v87
	s_delay_alu instid0(VALU_DEP_4) | instskip(SKIP_2) | instid1(VALU_DEP_4)
	v_xor3_b32 v89, v89, v90, v34
	v_cndmask_b32_e64 v90, 0, 32, s5
	v_cndmask_b32_e64 v34, 0, 32, s4
	v_fmac_f32_e32 v59, -0.5, v87
	v_cvt_i32_f32_e32 v87, v87
	s_delay_alu instid0(VALU_DEP_4) | instskip(SKIP_3) | instid1(VALU_DEP_4)
	v_ldexp_f32 v81, v81, v90
	v_mul_f32_e32 v90, 0x4f800000, v44
	v_ldexp_f32 v34, v82, v34
	v_mul_f32_e32 v82, 0x4f800000, v84
	v_log_f32_e32 v81, v81
	s_delay_alu instid0(VALU_DEP_3) | instskip(SKIP_3) | instid1(VALU_DEP_2)
	v_cndmask_b32_e64 v90, v44, v90, s11
	v_mul_f32_e32 v44, 0x4f800000, v88
	v_dual_cndmask_b32 v54, v86, v54, s3 :: v_dual_mul_f32 v86, v59, v59
	v_log_f32_e32 v34, v34
	v_cndmask_b32_e64 v88, v88, v44, s13
	v_mul_f32_e32 v44, 0x4f800000, v83
	v_cndmask_b32_e64 v82, v84, v82, s10
	v_mul_f32_e32 v84, 0x4f800000, v46
	s_delay_alu instid0(VALU_DEP_3) | instskip(NEXT) | instid1(VALU_DEP_2)
	v_cndmask_b32_e64 v83, v83, v44, s14
	v_dual_mul_f32 v44, v59, v86 :: v_dual_cndmask_b32 v84, v46, v84, s12
	v_mul_f32_e32 v46, 0x4f800000, v85
	s_delay_alu instid0(VALU_DEP_2) | instskip(NEXT) | instid1(VALU_DEP_1)
	v_sqrt_f32_e32 v91, v84
	v_cndmask_b32_e64 v85, v85, v46, s15
	v_fmaak_f32 v46, s61, v86, 0xbf1f24be
	s_delay_alu instid0(TRANS32_DEP_1) | instid1(VALU_DEP_1)
	v_dual_fmaak_f32 v46, v86, v46, 0x40234736 :: v_dual_add_nc_u32 v93, 1, v91
	s_delay_alu instid0(VALU_DEP_1) | instskip(NEXT) | instid1(VALU_DEP_1)
	v_fmaak_f32 v46, v86, v46, 0xc0a55e0e
	v_dual_mul_f32 v44, v44, v46 :: v_dual_bitop2_b32 v46, 1, v87 bitop3:0x40
	v_lshlrev_b32_e32 v87, 30, v87
	s_delay_alu instid0(VALU_DEP_2) | instskip(SKIP_1) | instid1(VALU_DEP_3)
	v_fmac_f32_e32 v44, 0x40490fdb, v59
	v_fmaak_f32 v59, s62, v86, 0x3e642e9d
	v_and_b32_e32 v87, 0x80000000, v87
	s_delay_alu instid0(VALU_DEP_2) | instskip(NEXT) | instid1(VALU_DEP_1)
	v_fmaak_f32 v59, v86, v59, 0xbfaad1da
	v_fmaak_f32 v59, v86, v59, 0x4081e0d3
	s_delay_alu instid0(VALU_DEP_1) | instskip(NEXT) | instid1(VALU_DEP_1)
	v_fmaak_f32 v59, v86, v59, 0xc09de9e6
	v_fma_f32 v59, v86, v59, 1.0
	v_cndmask_b32_e64 v86, 0, 0x42000000, s4
	v_cmp_eq_u32_e64 s4, 0, v46
	v_cndmask_b32_e64 v46, 0, 0x42000000, s5
	s_delay_alu instid0(VALU_DEP_2) | instskip(SKIP_1) | instid1(VALU_DEP_2)
	v_dual_sub_f32 v86, v34, v86 :: v_dual_cndmask_b32 v44, v59, v44, s4
	v_sqrt_f32_e32 v59, v54
	v_sub_f32_e32 v46, v81, v46
	v_cndmask_b32_e64 v34, 0x3f7d70a4, v56, s2
	s_delay_alu instid0(VALU_DEP_3) | instskip(SKIP_2) | instid1(TRANS32_DEP_3)
	v_xor3_b32 v57, v57, v87, v44
	v_sqrt_f32_e32 v44, v82
	v_sqrt_f32_e32 v87, v90
	v_dual_add_nc_u32 v81, -1, v59 :: v_dual_add_nc_u32 v56, 1, v59
	v_mul_f32_e32 v46, 0xbfb17218, v46
	s_delay_alu instid0(VALU_DEP_2) | instskip(NEXT) | instid1(TRANS32_DEP_1)
	v_fma_f32 v55, -v81, v59, v54
	v_add_nc_u32_e32 v92, 1, v87
	s_delay_alu instid0(VALU_DEP_3) | instskip(NEXT) | instid1(VALU_DEP_3)
	v_cmp_gt_f32_e64 s20, 0xf800000, v46
	v_cmp_ge_f32_e64 s2, 0, v55
	s_delay_alu instid0(VALU_DEP_1) | instskip(SKIP_1) | instid1(VALU_DEP_2)
	v_dual_fma_f32 v55, -v56, v59, v54 :: v_dual_cndmask_b32 v59, v59, v81, s2
	v_add_nc_u32_e32 v81, -1, v44
	v_cmp_lt_f32_e64 s2, 0, v55
	v_add_nc_u32_e32 v55, 1, v44
	s_delay_alu instid0(VALU_DEP_2) | instskip(NEXT) | instid1(VALU_DEP_4)
	v_cndmask_b32_e64 v56, v59, v56, s2
	v_fma_f32 v59, -v81, v44, v82
	s_delay_alu instid0(VALU_DEP_1) | instskip(NEXT) | instid1(VALU_DEP_1)
	v_cmp_ge_f32_e64 s2, 0, v59
	v_dual_add_nc_u32 v59, -1, v87 :: v_dual_cndmask_b32 v81, v44, v81, s2
	v_fma_f32 v44, -v55, v44, v82
	s_delay_alu instid0(VALU_DEP_1) | instskip(NEXT) | instid1(VALU_DEP_3)
	v_cmp_lt_f32_e64 s2, 0, v44
	v_fma_f32 v44, -v59, v87, v90
	s_delay_alu instid0(VALU_DEP_2) | instskip(NEXT) | instid1(VALU_DEP_2)
	v_cndmask_b32_e64 v55, v81, v55, s2
	v_cmp_ge_f32_e64 s4, 0, v44
	v_fma_f32 v44, -v92, v87, v90
	v_cmp_class_f32_e64 s2, v45, 0x1f8
	s_delay_alu instid0(VALU_DEP_3) | instskip(NEXT) | instid1(VALU_DEP_3)
	v_dual_sub_f32 v45, 1.0, v34 :: v_dual_cndmask_b32 v59, v87, v59, s4
	v_cmp_lt_f32_e64 s4, 0, v44
	v_add_nc_u32_e32 v44, -1, v91
	s_delay_alu instid0(VALU_DEP_4) | instskip(NEXT) | instid1(VALU_DEP_2)
	v_cndmask_b32_e64 v47, 0x7fc00000, v47, s2
	v_fma_f32 v87, -v44, v91, v84
	s_delay_alu instid0(VALU_DEP_1) | instskip(NEXT) | instid1(VALU_DEP_1)
	v_cmp_ge_f32_e64 s5, 0, v87
	v_dual_cndmask_b32 v87, v91, v44, s5 :: v_dual_fma_f32 v44, -v93, v91, v84
	s_delay_alu instid0(VALU_DEP_1) | instskip(SKIP_2) | instid1(TRANS32_DEP_1)
	v_cmp_lt_f32_e64 s5, 0, v44
	v_sqrt_f32_e32 v44, v88
	v_nop
	v_add_nc_u32_e32 v91, -1, v44
	s_delay_alu instid0(VALU_DEP_1) | instskip(NEXT) | instid1(VALU_DEP_1)
	v_fma_f32 v94, -v91, v44, v88
	v_cmp_ge_f32_e64 s16, 0, v94
	s_delay_alu instid0(VALU_DEP_1) | instskip(NEXT) | instid1(VALU_DEP_1)
	v_dual_add_nc_u32 v94, 1, v44 :: v_dual_cndmask_b32 v91, v44, v91, s16
	v_fma_f32 v44, -v94, v44, v88
	v_cndmask_b32_e64 v81, v59, v92, s4
	v_cmp_class_f32_e64 s4, v76, 0x1f8
	s_delay_alu instid0(VALU_DEP_3) | instskip(SKIP_1) | instid1(VALU_DEP_2)
	v_cmp_lt_f32_e64 s16, 0, v44
	v_sqrt_f32_e32 v44, v85
	v_cndmask_b32_e64 v48, 0x7fc00000, v48, s4
	s_delay_alu instid0(TRANS32_DEP_1) | instskip(NEXT) | instid1(VALU_DEP_1)
	v_add_nc_u32_e32 v95, -1, v44
	v_fma_f32 v96, -v95, v44, v85
	s_delay_alu instid0(VALU_DEP_1) | instskip(NEXT) | instid1(VALU_DEP_1)
	v_cmp_ge_f32_e64 s17, 0, v96
	v_dual_add_nc_u32 v96, 1, v44 :: v_dual_cndmask_b32 v95, v44, v95, s17
	s_delay_alu instid0(VALU_DEP_1) | instskip(NEXT) | instid1(VALU_DEP_1)
	v_fma_f32 v44, -v96, v44, v85
	v_cmp_lt_f32_e64 s17, 0, v44
	v_sqrt_f32_e32 v44, v83
	v_nop
	s_delay_alu instid0(TRANS32_DEP_1) | instskip(NEXT) | instid1(VALU_DEP_1)
	v_add_nc_u32_e32 v97, -1, v44
	v_fma_f32 v98, -v97, v44, v83
	v_cndmask_b32_e64 v92, v95, v96, s17
	v_cmp_class_f32_e64 s17, v50, 0x1f8
	v_mul_f32_e32 v50, 0x37800000, v56
	s_delay_alu instid0(VALU_DEP_4) | instskip(SKIP_1) | instid1(VALU_DEP_4)
	v_cmp_ge_f32_e64 s18, 0, v98
	v_add_nc_u32_e32 v98, 1, v44
	v_cndmask_b32_e64 v36, 0x7fc00000, v36, s17
	s_delay_alu instid0(VALU_DEP_4) | instskip(SKIP_1) | instid1(VALU_DEP_4)
	v_cndmask_b32_e64 v50, v56, v50, s3
	v_cmp_class_f32_e64 s3, v54, 0x260
	v_dual_cndmask_b32 v97, v44, v97, s18 :: v_dual_fma_f32 v44, -v98, v44, v83
	s_delay_alu instid0(VALU_DEP_1) | instskip(SKIP_3) | instid1(VALU_DEP_4)
	v_cmp_lt_f32_e64 s18, 0, v44
	v_cndmask_b32_e64 v87, v87, v93, s5
	v_mul_f32_e32 v44, 0x3f317218, v80
	v_cmp_class_f32_e64 s5, v78, 0x1f8
	v_cndmask_b32_e64 v93, v97, v98, s18
	v_cndmask_b32_e64 v91, v91, v94, s16
	v_div_scale_f32 v94, null, v45, v45, 0x3e800000
	v_fma_f32 v42, 0x3f317218, v80, -v44
	v_cmp_class_f32_e64 s18, v51, 0x1f8
	v_mul_f32_e32 v51, 0x37800000, v87
	s_delay_alu instid0(VALU_DEP_4) | instskip(SKIP_4) | instid1(TRANS32_DEP_1)
	v_rcp_f32_e32 v95, v94
	v_cmp_class_f32_e64 s16, v53, 0x1f8
	v_cndmask_b32_e64 v49, 0x7fc00000, v49, s5
	v_cndmask_b32_e64 v57, 0x7fc00000, v57, s18
	;; [unrolled: 1-line block ×3, first 2 shown]
	v_fma_f32 v56, -v94, v95, 1.0
	s_delay_alu instid0(VALU_DEP_1) | instskip(SKIP_1) | instid1(VALU_DEP_1)
	v_dual_fmac_f32 v95, v56, v95 :: v_dual_fmac_f32 v42, 0xb102e308, v80
	v_mul_f32_e32 v80, 0xbfb17218, v86
	v_mul_f32_e32 v86, 0x4f800000, v80
	v_cmp_gt_f32_e64 s9, 0xf800000, v80
	s_delay_alu instid0(VALU_DEP_1) | instskip(SKIP_1) | instid1(VALU_DEP_1)
	v_cndmask_b32_e64 v80, v80, v86, s9
	v_mul_f32_e32 v86, 0x4f800000, v46
	v_cndmask_b32_e64 v86, v46, v86, s20
	v_add_f32_e32 v46, v38, v39
	s_delay_alu instid0(VALU_DEP_1) | instskip(SKIP_1) | instid1(VALU_DEP_2)
	v_sub_f32_e32 v38, v46, v38
	v_mul_f32_e32 v76, v46, v46
	v_sub_f32_e32 v59, v39, v38
	v_mul_f32_e32 v39, 0x37800000, v55
	v_cndmask_b32_e64 v38, v50, v54, s3
	s_delay_alu instid0(VALU_DEP_4) | instskip(SKIP_2) | instid1(VALU_DEP_4)
	v_fma_f32 v78, v46, v46, -v76
	v_cmp_gt_f32_e64 s3, |v40|, 1.0
	v_add_f32_e32 v56, v59, v59
	v_dual_cndmask_b32 v39, v55, v39, s10 :: v_dual_mul_f32 v37, v38, v37
	v_cndmask_b32_e64 v38, 0, v77, s7
	v_cmp_gt_f32_e64 s7, |v41|, 1.0
	s_delay_alu instid0(VALU_DEP_4) | instskip(SKIP_2) | instid1(VALU_DEP_4)
	v_dual_fmac_f32 v78, v46, v56 :: v_dual_cndmask_b32 v56, 0, v79, s8
	v_mul_f32_e32 v50, 0x37800000, v81
	v_mul_f32_e32 v54, 0x37800000, v92
	v_cndmask_b32_e64 v38, |v41|, v38, s7
	v_cmp_lt_f32_e64 s7, |v75|, 1.0
	v_cndmask_b32_e64 v56, |v40|, v56, s3
	v_cmp_class_f32_e64 s3, v82, 0x260
	v_cndmask_b32_e64 v50, v81, v50, s11
	v_add_f32_e32 v77, v38, v38
	v_cndmask_b32_e64 v54, v92, v54, s15
	s_delay_alu instid0(VALU_DEP_4) | instskip(SKIP_1) | instid1(VALU_DEP_4)
	v_dual_add_f32 v79, v56, v56 :: v_dual_cndmask_b32 v39, v39, v82, s3
	v_cmp_class_f32_e64 s3, v90, 0x260
	v_rndne_f32_e32 v77, v77
	v_cndmask_b32_e32 v92, 0x7fc00000, v52, vcc_lo
	s_delay_alu instid0(VALU_DEP_4)
	v_rndne_f32_e32 v79, v79
	v_mul_f32_e32 v39, v39, v47
	v_sqrt_f32_e32 v47, v80
	v_mul_f32_e32 v55, 0x37800000, v93
	v_dual_cndmask_b32 v50, v50, v90, s3 :: v_dual_fmac_f32 v38, -0.5, v77
	v_cmp_class_f32_e64 s3, v84, 0x260
	v_fmac_f32_e32 v56, -0.5, v79
	s_delay_alu instid0(VALU_DEP_4) | instskip(SKIP_1) | instid1(VALU_DEP_4)
	v_cndmask_b32_e64 v55, v93, v55, s14
	v_mul_f32_e32 v53, 0x37800000, v91
	v_dual_mul_f32 v81, v38, v38 :: v_dual_cndmask_b32 v51, v51, v84, s3
	v_cmp_class_f32_e64 s3, v88, 0x260
	s_delay_alu instid0(VALU_DEP_3) | instskip(NEXT) | instid1(VALU_DEP_3)
	v_dual_mul_f32 v82, v56, v56 :: v_dual_cndmask_b32 v53, v91, v53, s13
	v_fmaak_f32 v84, s61, v81, 0xbf1f24be
	s_delay_alu instid0(VALU_DEP_4) | instskip(SKIP_1) | instid1(VALU_DEP_4)
	v_dual_mul_f32 v51, v51, v49 :: v_dual_add_nc_u32 v49, -1, v47
	v_cvt_i32_f32_e32 v90, v77
	v_cndmask_b32_e64 v53, v53, v88, s3
	v_cmp_class_f32_e64 s3, v85, 0x260
	v_fmaak_f32 v84, v81, v84, 0x40234736
	v_cvt_i32_f32_e32 v79, v79
	v_div_scale_f32 v52, vcc_lo, 0x3e800000, v45, 0x3e800000
	s_delay_alu instid0(VALU_DEP_4) | instskip(SKIP_2) | instid1(VALU_DEP_2)
	v_cndmask_b32_e64 v54, v54, v85, s3
	v_cmp_class_f32_e64 s3, v83, 0x260
	v_dual_fmaak_f32 v84, v81, v84, 0xc0a55e0e :: v_dual_mul_f32 v85, v56, v82
	v_dual_mul_f32 v88, v54, v36 :: v_dual_cndmask_b32 v55, v55, v83, s3
	v_mul_f32_e32 v83, v38, v81
	s_delay_alu instid0(VALU_DEP_1) | instskip(NEXT) | instid1(VALU_DEP_1)
	v_dual_mul_f32 v83, v83, v84 :: v_dual_fmaak_f32 v84, s61, v82, 0xbf1f24be
	v_fmac_f32_e32 v83, 0x40490fdb, v38
	s_delay_alu instid0(VALU_DEP_2) | instskip(NEXT) | instid1(VALU_DEP_1)
	v_fmaak_f32 v84, v82, v84, 0x40234736
	v_fmaak_f32 v84, v82, v84, 0xc0a55e0e
	s_delay_alu instid0(VALU_DEP_1) | instskip(SKIP_3) | instid1(VALU_DEP_1)
	v_mul_f32_e32 v84, v85, v84
	v_mul_f32_e32 v85, v50, v48
	v_cndmask_b32_e64 v50, 0x7fc00000, v89, s16
	v_sqrt_f32_e32 v48, v86
	v_dual_fmac_f32 v84, 0x40490fdb, v56 :: v_dual_mul_f32 v53, v53, v50
	s_delay_alu instid0(TRANS32_DEP_1) | instskip(NEXT) | instid1(VALU_DEP_1)
	v_dual_fma_f32 v50, -v49, v47, v80 :: v_dual_add_nc_u32 v89, 1, v48
	v_cmp_ge_f32_e64 s2, 0, v50
	s_delay_alu instid0(VALU_DEP_1) | instskip(NEXT) | instid1(VALU_DEP_1)
	v_dual_add_nc_u32 v50, 1, v47 :: v_dual_cndmask_b32 v87, v47, v49, s2
	v_fma_f32 v47, -v50, v47, v80
	s_delay_alu instid0(VALU_DEP_1) | instskip(SKIP_1) | instid1(VALU_DEP_1)
	v_cmp_lt_f32_e64 s2, 0, v47
	v_dual_add_nc_u32 v47, -1, v48 :: v_dual_bitop2_b32 v54, 1, v79 bitop3:0x40
	v_fma_f32 v36, -v47, v48, v86
	s_delay_alu instid0(VALU_DEP_1) | instskip(SKIP_1) | instid1(VALU_DEP_2)
	v_cmp_ge_f32_e64 s3, 0, v36
	v_dual_fma_f32 v36, -v89, v48, v86 :: v_dual_mul_f32 v57, v55, v57
	v_cndmask_b32_e64 v47, v48, v47, s3
	s_delay_alu instid0(VALU_DEP_2) | instskip(SKIP_2) | instid1(VALU_DEP_3)
	v_cmp_lt_f32_e64 s3, 0, v36
	v_fmaak_f32 v36, s62, v81, 0x3e642e9d
	v_mov_b64_e32 v[48:49], s[22:23]
	v_cndmask_b32_e64 v47, v47, v89, s3
	s_delay_alu instid0(VALU_DEP_3) | instskip(SKIP_1) | instid1(VALU_DEP_2)
	v_fmaak_f32 v36, v81, v36, 0xbfaad1da
	v_cmp_class_f32_e64 s3, v40, 0x1f8
	v_fmaak_f32 v36, v81, v36, 0x4081e0d3
	s_delay_alu instid0(VALU_DEP_1) | instskip(NEXT) | instid1(VALU_DEP_1)
	v_fmaak_f32 v36, v81, v36, 0xc09de9e6
	v_fma_f32 v38, v81, v36, 1.0
	v_and_b32_e32 v36, 1, v90
	v_cndmask_b32_e64 v81, v87, v50, s2
	v_cmp_eq_u32_e64 s5, 0, v54
	v_minmax_num_f32 v50, v51, 4.0, -4.0
	v_minmax_num_f32 v51, v53, 4.0, -4.0
	v_cmp_eq_u32_e64 s4, 0, v36
	v_fmaak_f32 v36, s62, v82, 0x3e642e9d
	v_pk_mul_f32 v[54:55], v[4:5], v[6:7]
	v_cmp_class_f32_e64 s2, v41, 0x1f8
	s_delay_alu instid0(VALU_DEP_4) | instskip(NEXT) | instid1(VALU_DEP_4)
	v_cndmask_b32_e64 v38, v38, v83, s4
	v_fmaak_f32 v36, v82, v36, 0xbfaad1da
	s_delay_alu instid0(VALU_DEP_4) | instskip(SKIP_2) | instid1(VALU_DEP_4)
	v_mov_b32_e32 v77, v54
	v_mul_f32_e32 v83, 0x37800000, v47
	v_cmp_class_f32_e64 s4, v80, 0x260
	v_fmaak_f32 v36, v82, v36, 0x4081e0d3
	s_delay_alu instid0(VALU_DEP_3) | instskip(NEXT) | instid1(VALU_DEP_2)
	v_cndmask_b32_e64 v47, v47, v83, s20
	v_fmaak_f32 v36, v82, v36, 0xc09de9e6
	s_delay_alu instid0(VALU_DEP_1) | instskip(SKIP_3) | instid1(VALU_DEP_4)
	v_fma_f32 v56, v82, v36, 1.0
	v_minmax_num_f32 v36, v37, 4.0, -4.0
	v_minmax_num_f32 v37, v39, 4.0, -4.0
	v_dual_mul_f32 v82, 0x37800000, v81 :: v_dual_lshlrev_b32 v39, 30, v90
	v_cndmask_b32_e64 v53, v56, v84, s5
	v_add_f32_e32 v56, v76, v78
	v_cmp_class_f32_e64 s5, v86, 0x260
	s_delay_alu instid0(VALU_DEP_4) | instskip(NEXT) | instid1(VALU_DEP_3)
	v_and_b32_e32 v39, 0x80000000, v39
	v_sub_f32_e32 v54, v56, v76
	v_mov_b32_e32 v76, v36
	s_delay_alu instid0(VALU_DEP_3) | instskip(SKIP_1) | instid1(VALU_DEP_4)
	v_xor3_b32 v33, v33, v39, v38
	v_lshlrev_b32_e32 v38, 30, v79
	v_dual_mul_f32 v79, v52, v95 :: v_dual_sub_f32 v78, v78, v54
	v_mov_b32_e32 v54, v37
	v_mul_f32_e32 v39, v29, v13
	s_delay_alu instid0(VALU_DEP_4) | instskip(SKIP_1) | instid1(VALU_DEP_4)
	v_and_b32_e32 v38, 0x80000000, v38
	v_cndmask_b32_e64 v33, 0x7fc00000, v33, s2
	v_pk_add_f32 v[40:41], v[76:77], v[54:55]
	v_cndmask_b32_e64 v54, v81, v82, s9
	s_delay_alu instid0(VALU_DEP_4)
	v_xor3_b32 v14, v14, v38, v53
	v_minmax_num_f32 v38, v57, 4.0, -4.0
	v_fmaak_f32 v57, s54, v56, 0x3e91f4c4
	v_fma_f32 v53, -v94, v79, v52
	v_cndmask_b32_e64 v54, v54, v80, s4
	v_cndmask_b32_e64 v55, 0x7fc00000, v14, s3
	v_pk_add_f32 v[40:41], v[40:41], v[38:39]
	v_fmaak_f32 v57, v56, v57, 0x3ecccdef
	v_fmac_f32_e32 v79, v53, v95
	v_minmax_num_f32 v53, v85, 4.0, -4.0
	v_mul_f32_e32 v39, v54, v55
	v_minmax_num_f32 v85, v88, 4.0, -4.0
	s_delay_alu instid0(VALU_DEP_4) | instskip(SKIP_2) | instid1(VALU_DEP_3)
	v_dual_mul_f32 v89, v56, v57 :: v_dual_fma_f32 v52, -v94, v79, v52
	v_div_scale_f32 v81, null, v73, v73, v41
	v_div_scale_f32 v88, s3, v41, v73, v41
	v_fma_f32 v14, v56, v57, -v89
	s_delay_alu instid0(VALU_DEP_4) | instskip(SKIP_2) | instid1(VALU_DEP_4)
	v_div_fmas_f32 v52, v52, v95, v79
	v_cndmask_b32_e64 v47, v47, v86, s5
	v_div_scale_f32 v86, null, 0x40400000, 0x40400000, v40
	v_fmac_f32_e32 v14, v78, v57
	s_delay_alu instid0(VALU_DEP_4)
	v_div_fixup_f32 v80, v52, v45, 0x3e800000
	v_minmax_num_f32 v52, v39, 4.0, -4.0
	v_mul_f32_e32 v33, v47, v33
	v_rcp_f32_e32 v77, v81
	v_add_f32_e32 v55, v89, v14
	v_div_scale_f32 v82, null, v45, v45, v80
	v_pk_add_f32 v[52:53], v[52:53], v[50:51]
	v_minmax_num_f32 v33, v33, 4.0, -4.0
	s_delay_alu instid0(VALU_DEP_4) | instskip(SKIP_3) | instid1(VALU_DEP_2)
	v_sub_f32_e32 v54, v55, v89
	v_rcp_f32_e32 v39, v86
	v_rcp_f32_e32 v84, v82
	v_div_scale_f32 v87, s2, v40, 0x40400000, v40
	v_pk_add_f32 v[50:51], v[54:55], v[48:49]
	v_pk_mul_f32 v[48:49], v[52:53], 0.5 op_sel_hi:[1,0]
	v_pk_add_f32 v[52:53], v[14:15], v[54:55] neg_lo:[0,1] neg_hi:[0,1]
	v_add_f32_e32 v85, v33, v85
	v_fma_f32 v33, -v81, v77, 1.0
	v_mov_b32_e32 v53, v51
	v_fma_f32 v47, -v86, v39, 1.0
	v_fma_f32 v14, -v82, v84, 1.0
	v_div_scale_f32 v83, vcc_lo, v80, v45, v80
	v_fmac_f32_e32 v77, v33, v77
	v_pk_add_f32 v[52:53], v[52:53], v[20:21]
	s_delay_alu instid0(VALU_DEP_4) | instskip(SKIP_1) | instid1(VALU_DEP_4)
	v_dual_fmac_f32 v39, v47, v39 :: v_dual_fmac_f32 v84, v14, v84
	v_pk_mul_f32 v[90:91], v[6:7], v[48:49]
	v_mul_f32_e32 v79, v88, v77
	s_delay_alu instid0(VALU_DEP_4) | instskip(NEXT) | instid1(VALU_DEP_4)
	v_dual_sub_f32 v57, v55, v53 :: v_dual_mov_b32 v47, v52
	v_dual_mov_b32 v33, v52 :: v_dual_mul_f32 v76, v87, v39
	s_delay_alu instid0(VALU_DEP_4) | instskip(SKIP_1) | instid1(VALU_DEP_4)
	v_add_f32_e32 v14, v90, v91
	v_cndmask_b32_e64 v90, 0x7fc00000, v43, s1
	v_pk_mul_f32 v[54:55], v[46:47], v[56:57]
	s_delay_alu instid0(VALU_DEP_4) | instskip(SKIP_2) | instid1(VALU_DEP_3)
	v_pk_add_f32 v[52:53], v[32:33], v[56:57]
	v_dual_fma_f32 v33, -v81, v79, v88 :: v_dual_mul_f32 v47, v83, v84
	v_ldexp_f32 v43, v46, 1
	v_dual_fma_f32 v50, v56, v46, -v54 :: v_dual_mov_b32 v55, v53
	s_delay_alu instid0(VALU_DEP_3) | instskip(SKIP_2) | instid1(VALU_DEP_4)
	v_fmac_f32_e32 v79, v33, v77
	v_fma_f32 v33, -v86, v76, v87
	v_cmp_neq_f32_e64 s4, v74, |v74|
	v_fmac_f32_e32 v50, v56, v59
	v_xor_b32_e32 v56, 0x80000000, v64
	v_mul_f32_e32 v89, v58, v35
	v_fmac_f32_e32 v76, v33, v39
	v_fma_f32 v33, -v82, v47, v83
	v_fmac_f32_e32 v50, v78, v46
	s_xor_b32 s4, s4, s7
	v_ldexp_f32 v91, v59, 1
	v_cndmask_b32_e64 v52, 0x7f800000, 0, s4
	v_fmac_f32_e32 v47, v33, v84
	v_cmp_neq_f32_e64 s4, |v75|, 1.0
	v_fma_f32 v81, -v81, v79, v88
	v_cmp_class_f32_e64 s5, v75, 0x204
	s_delay_alu instid0(VALU_DEP_4) | instskip(NEXT) | instid1(VALU_DEP_4)
	v_dual_mul_f32 v58, 0.5, v85 :: v_dual_fma_f32 v82, -v82, v47, v83
	v_cndmask_b32_e64 v88, 1.0, v52, s4
	s_delay_alu instid0(VALU_DEP_2) | instskip(NEXT) | instid1(VALU_DEP_3)
	v_pk_mul_f32 v[58:59], v[6:7], v[58:59] op_sel:[1,0] op_sel_hi:[0,0]
	v_div_fmas_f32 v47, v82, v84, v47
	s_mov_b32 vcc_lo, s0
	v_div_fmas_f32 v67, v69, v67, v68
	s_delay_alu instid0(VALU_DEP_2) | instskip(NEXT) | instid1(VALU_DEP_2)
	v_div_fixup_f32 v46, v47, v45, v80
	v_div_fixup_f32 v47, v67, v66, 0x3e800000
	v_pk_add_f32 v[66:67], v[54:55], v[50:51]
	s_delay_alu instid0(VALU_DEP_2) | instskip(SKIP_1) | instid1(VALU_DEP_3)
	v_pk_add_f32 v[68:69], v[46:47], s[52:53] op_sel_hi:[1,0]
	v_sub_f32_e32 v45, 0x3e800000, v47
	v_dual_sub_f32 v47, v66, v54 :: v_dual_mov_b32 v46, v67
	v_dual_mul_f32 v57, v64, v92 :: v_dual_sub_f32 v51, v51, v67
	s_delay_alu instid0(VALU_DEP_4) | instskip(NEXT) | instid1(VALU_DEP_3)
	v_pk_add_f32 v[34:35], v[34:35], v[68:69]
	v_dual_add_f32 v45, v45, v70 :: v_dual_sub_f32 v54, v50, v47
	s_delay_alu instid0(VALU_DEP_4) | instskip(NEXT) | instid1(VALU_DEP_4)
	v_pk_mul_f32 v[46:47], v[66:67], v[46:47]
	v_dual_fma_f32 v52, -v86, v76, v87 :: v_dual_add_f32 v51, v53, v51
	s_delay_alu instid0(VALU_DEP_3) | instskip(SKIP_1) | instid1(VALU_DEP_4)
	v_mul_f32_e32 v53, v64, v45
	v_pk_mul_f32 v[34:35], v[34:35], v[56:57]
	v_dual_fma_f32 v50, v66, v67, -v46 :: v_dual_mov_b32 v47, v43
	v_pk_mul_f32 v[4:5], v[4:5], v[32:33] op_sel_hi:[1,0]
	s_delay_alu instid0(VALU_DEP_4) | instskip(NEXT) | instid1(VALU_DEP_4)
	v_div_scale_f32 v64, null, v89, v89, v53
	v_mul_f32_e32 v68, v65, v35
	s_delay_alu instid0(VALU_DEP_4) | instskip(SKIP_1) | instid1(VALU_DEP_4)
	v_fmac_f32_e32 v50, v66, v51
	v_div_scale_f32 v69, vcc_lo, v53, v89, v53
	v_rcp_f32_e32 v70, v64
	s_delay_alu instid0(VALU_DEP_3) | instskip(NEXT) | instid1(VALU_DEP_3)
	v_div_scale_f32 v78, null, v90, v90, v68
	v_fmac_f32_e32 v50, v54, v67
	v_div_scale_f32 v80, s0, v68, v90, v68
	s_delay_alu instid0(VALU_DEP_3) | instskip(NEXT) | instid1(TRANS32_DEP_2)
	v_rcp_f32_e32 v67, v78
	v_fma_f32 v51, -v64, v70, 1.0
	s_delay_alu instid0(VALU_DEP_3) | instskip(NEXT) | instid1(VALU_DEP_2)
	v_dual_add_f32 v45, v46, v50 :: v_dual_mov_b32 v33, v32
	v_dual_mov_b32 v32, v13 :: v_dual_fmac_f32 v70, v51, v70
	s_delay_alu instid0(VALU_DEP_2) | instskip(NEXT) | instid1(TRANS32_DEP_1)
	v_pk_add_f32 v[54:55], v[44:45], v[42:43]
	v_fma_f32 v43, -v78, v67, 1.0
	s_delay_alu instid0(VALU_DEP_2) | instskip(SKIP_1) | instid1(VALU_DEP_3)
	v_dual_mul_f32 v82, v69, v70 :: v_dual_mov_b32 v57, v55
	v_dual_mov_b32 v56, v45 :: v_dual_mov_b32 v51, v45
	v_dual_fmac_f32 v67, v43, v67 :: v_dual_mov_b32 v43, v54
	s_delay_alu instid0(VALU_DEP_3) | instskip(NEXT) | instid1(VALU_DEP_3)
	v_fma_f32 v45, -v64, v82, v69
	v_pk_add_f32 v[46:47], v[56:57], v[46:47] neg_lo:[0,1] neg_hi:[0,1]
	v_dual_mov_b32 v65, v54 :: v_dual_mov_b32 v66, v55
	s_delay_alu instid0(VALU_DEP_3) | instskip(NEXT) | instid1(VALU_DEP_3)
	v_dual_mul_f32 v56, v80, v67 :: v_dual_fmac_f32 v82, v45, v70
	v_pk_add_f32 v[46:47], v[50:51], v[46:47] neg_lo:[0,1] neg_hi:[0,1]
	s_delay_alu instid0(VALU_DEP_1) | instskip(NEXT) | instid1(VALU_DEP_1)
	v_dual_fma_f32 v50, -v78, v56, v80 :: v_dual_add_f32 v45, v91, v46
	v_dual_fmac_f32 v56, v50, v67 :: v_dual_fma_f32 v46, -v64, v82, v69
	s_delay_alu instid0(VALU_DEP_1) | instskip(NEXT) | instid1(VALU_DEP_2)
	v_dual_add_f32 v45, v45, v47 :: v_dual_fma_f32 v47, -v78, v56, v80
	v_div_fmas_f32 v50, v46, v70, v82
	s_mov_b32 vcc_lo, s0
	s_delay_alu instid0(VALU_DEP_2) | instskip(NEXT) | instid1(VALU_DEP_3)
	v_mov_b32_e32 v64, v45
	v_div_fmas_f32 v56, v47, v67, v56
	v_pk_add_f32 v[46:47], v[54:55], v[44:45]
	v_div_fixup_f32 v53, v50, v89, v53
	v_pk_add_f32 v[50:51], v[54:55], v[44:45] neg_lo:[0,1] neg_hi:[0,1]
	s_delay_alu instid0(VALU_DEP_4) | instskip(NEXT) | instid1(VALU_DEP_1)
	v_div_fixup_f32 v44, v56, v90, v68
	v_dual_mov_b32 v51, v47 :: v_dual_add_f32 v53, v53, v44
	s_delay_alu instid0(VALU_DEP_1) | instskip(SKIP_2) | instid1(VALU_DEP_3)
	v_pk_add_f32 v[44:45], v[42:43], v[50:51]
	v_mov_b32_e32 v44, v47
	v_pk_add_f32 v[42:43], v[42:43], v[50:51] neg_lo:[0,1] neg_hi:[0,1]
	v_dual_mul_f32 v53, 0x3eddb22d, v53 :: v_dual_mov_b32 v50, v45
	v_mov_b32_e32 v43, v45
	s_delay_alu instid0(VALU_DEP_2) | instskip(NEXT) | instid1(VALU_DEP_3)
	v_div_scale_f32 v56, null, v63, v63, v53
	v_pk_add_f32 v[54:55], v[50:51], v[54:55] neg_lo:[0,1] neg_hi:[0,1]
	v_div_scale_f32 v57, vcc_lo, v53, v63, v53
	s_delay_alu instid0(VALU_DEP_3) | instskip(NEXT) | instid1(VALU_DEP_2)
	v_rcp_f32_e32 v68, v56
	v_dual_mov_b32 v67, v54 :: v_dual_mov_b32 v51, v54
	s_delay_alu instid0(VALU_DEP_1) | instskip(NEXT) | instid1(VALU_DEP_2)
	v_pk_add_f32 v[44:45], v[44:45], v[66:67] neg_lo:[0,1] neg_hi:[0,1]
	v_pk_add_f32 v[46:47], v[46:47], v[50:51] neg_lo:[0,1] neg_hi:[0,1]
	s_delay_alu instid0(TRANS32_DEP_1) | instskip(SKIP_1) | instid1(VALU_DEP_4)
	v_fma_f32 v51, -v56, v68, 1.0
	v_mov_b32_e32 v46, v42
	v_pk_add_f32 v[44:45], v[64:65], v[44:45] neg_lo:[0,1] neg_hi:[0,1]
	s_delay_alu instid0(VALU_DEP_3) | instskip(NEXT) | instid1(VALU_DEP_2)
	v_fmac_f32_e32 v68, v51, v68
	v_pk_add_f32 v[46:47], v[46:47], v[44:45]
	s_delay_alu instid0(VALU_DEP_1) | instskip(NEXT) | instid1(VALU_DEP_1)
	v_dual_mul_f32 v64, v57, v68 :: v_dual_mov_b32 v54, v47
	v_fma_f32 v45, -v56, v64, v57
	s_delay_alu instid0(VALU_DEP_2) | instskip(NEXT) | instid1(VALU_DEP_1)
	v_pk_add_f32 v[54:55], v[46:47], v[54:55]
	v_dual_fmac_f32 v64, v45, v68 :: v_dual_mov_b32 v45, v54
	s_delay_alu instid0(VALU_DEP_2) | instskip(NEXT) | instid1(VALU_DEP_1)
	v_pk_add_f32 v[50:51], v[50:51], v[54:55]
	v_dual_fma_f32 v51, -v56, v64, v57 :: v_dual_mov_b32 v47, v50
	s_delay_alu instid0(VALU_DEP_1) | instskip(NEXT) | instid1(VALU_DEP_2)
	v_div_fmas_f32 v51, v51, v68, v64
	v_pk_add_f32 v[54:55], v[46:47], v[42:43] neg_lo:[0,1] neg_hi:[0,1]
	s_delay_alu instid0(VALU_DEP_2) | instskip(NEXT) | instid1(VALU_DEP_2)
	v_div_fixup_f32 v43, v51, v63, v53
	v_pk_add_f32 v[44:45], v[44:45], v[54:55] neg_lo:[0,1] neg_hi:[0,1]
	s_delay_alu instid0(VALU_DEP_2) | instskip(SKIP_2) | instid1(VALU_DEP_3)
	v_div_scale_f32 v53, null, v43, v43, v35
	v_div_scale_f32 v47, null, v43, v43, v34
	v_div_scale_f32 v51, vcc_lo, v34, v43, v34
	v_rcp_f32_e32 v55, v53
	v_nop
	s_delay_alu instid0(TRANS32_DEP_1) | instskip(SKIP_2) | instid1(VALU_DEP_2)
	v_fma_f32 v56, -v53, v55, 1.0
	v_sub_f32_e32 v46, v46, v54
	v_div_scale_f32 v54, s0, v35, v43, v35
	v_dual_fmac_f32 v55, v56, v55 :: v_dual_sub_f32 v42, v42, v46
	v_rcp_f32_e32 v46, v47
	s_delay_alu instid0(VALU_DEP_1) | instskip(NEXT) | instid1(TRANS32_DEP_1)
	v_add_f32_e32 v42, v44, v42
	v_fma_f32 v44, -v47, v46, 1.0
	s_delay_alu instid0(VALU_DEP_1) | instskip(NEXT) | instid1(VALU_DEP_1)
	v_dual_fmac_f32 v46, v44, v46 :: v_dual_add_f32 v42, v42, v45
	v_mul_f32_e32 v45, v51, v46
	s_delay_alu instid0(VALU_DEP_1) | instskip(NEXT) | instid1(VALU_DEP_1)
	v_dual_add_f32 v44, v50, v42 :: v_dual_fma_f32 v63, -v47, v45, v51
	v_dual_mul_f32 v56, v54, v55 :: v_dual_sub_f32 v50, v44, v50
	s_delay_alu instid0(VALU_DEP_2) | instskip(NEXT) | instid1(VALU_DEP_2)
	v_dual_mul_f32 v57, v74, v44 :: v_dual_fmac_f32 v45, v63, v46
	v_dual_fma_f32 v64, -v53, v56, v54 :: v_dual_sub_f32 v42, v42, v50
	s_delay_alu instid0(VALU_DEP_2) | instskip(SKIP_1) | instid1(VALU_DEP_3)
	v_fma_f32 v44, v74, v44, -v57
	v_cmp_class_f32_e64 s1, v57, 0x204
	v_fmac_f32_e32 v56, v64, v55
	s_delay_alu instid0(VALU_DEP_3) | instskip(NEXT) | instid1(VALU_DEP_1)
	v_dual_fmac_f32 v44, v74, v42 :: v_dual_fma_f32 v42, -v47, v45, v51
	v_add_f32_e32 v50, v57, v44
	s_delay_alu instid0(VALU_DEP_3) | instskip(NEXT) | instid1(VALU_DEP_3)
	v_fma_f32 v47, -v53, v56, v54
	v_div_fmas_f32 v42, v42, v46, v45
	s_mov_b32 vcc_lo, s0
	s_delay_alu instid0(VALU_DEP_3) | instskip(NEXT) | instid1(VALU_DEP_3)
	v_sub_f32_e32 v45, v50, v57
	v_div_fmas_f32 v47, v47, v55, v56
	s_delay_alu instid0(VALU_DEP_3) | instskip(NEXT) | instid1(VALU_DEP_3)
	v_div_fixup_f32 v42, v42, v43, v34
	v_sub_f32_e32 v34, v44, v45
	v_cndmask_b32_e64 v46, v50, v57, s1
	s_delay_alu instid0(VALU_DEP_4) | instskip(NEXT) | instid1(VALU_DEP_4)
	v_div_fixup_f32 v43, v47, v43, v35
	v_div_scale_f32 v45, null, v73, v73, v42
	s_delay_alu instid0(VALU_DEP_3) | instskip(SKIP_2) | instid1(VALU_DEP_1)
	v_cmp_neq_f32_e64 vcc_lo, 0x7f800000, |v46|
	v_cndmask_b32_e32 v34, 0, v34, vcc_lo
	v_cmp_eq_f32_e64 s0, 0x42b17218, v46
	v_cndmask_b32_e64 v44, 0, 0x37000000, s0
	v_div_scale_f32 v47, s0, v42, v73, v42
	s_delay_alu instid0(VALU_DEP_2) | instskip(SKIP_1) | instid1(VALU_DEP_1)
	v_dual_sub_f32 v35, v46, v44 :: v_dual_add_f32 v34, v44, v34
	v_rcp_f32_e32 v46, v45
	v_mul_f32_e32 v50, 0x3fb8aa3b, v35
	v_cmp_ngt_f32_e32 vcc_lo, 0xc2ce8ed0, v35
	s_delay_alu instid0(TRANS32_DEP_1) | instskip(NEXT) | instid1(VALU_DEP_3)
	v_fma_f32 v53, -v45, v46, 1.0
	v_fma_f32 v44, 0x3fb8aa3b, v35, -v50
	v_rndne_f32_e32 v51, v50
	s_delay_alu instid0(VALU_DEP_3) | instskip(NEXT) | instid1(VALU_DEP_3)
	v_fmac_f32_e32 v46, v53, v46
	v_fmac_f32_e32 v44, 0x32a5705f, v35
	s_delay_alu instid0(VALU_DEP_3) | instskip(SKIP_1) | instid1(VALU_DEP_2)
	v_sub_f32_e32 v50, v50, v51
	v_cvt_i32_f32_e32 v51, v51
	v_dual_add_f32 v44, v50, v44 :: v_dual_mul_f32 v50, v47, v46
	s_delay_alu instid0(VALU_DEP_1) | instskip(SKIP_1) | instid1(TRANS32_DEP_1)
	v_exp_f32_e32 v44, v44
	v_nop
	v_ldexp_f32 v44, v44, v51
	s_delay_alu instid0(VALU_DEP_1) | instskip(SKIP_1) | instid1(VALU_DEP_2)
	v_dual_fma_f32 v51, -v45, v50, v47 :: v_dual_cndmask_b32 v44, 0, v44, vcc_lo
	v_cmp_nlt_f32_e32 vcc_lo, 0x42b17218, v35
	v_dual_fmac_f32 v50, v51, v46 :: v_dual_cndmask_b32 v35, 0x7f800000, v44
	s_delay_alu instid0(VALU_DEP_1) | instskip(SKIP_1) | instid1(VALU_DEP_2)
	v_fma_f32 v34, v35, v34, v35
	v_cmp_class_f32_e64 vcc_lo, v35, 0x204
	v_cndmask_b32_e32 v34, v34, v35, vcc_lo
	v_cmp_class_f32_e64 vcc_lo, v74, 0x204
	s_delay_alu instid0(VALU_DEP_2) | instskip(NEXT) | instid1(VALU_DEP_1)
	v_bfi_b32 v34, 0x7fffffff, v34, v71
	v_cndmask_b32_e32 v34, v34, v88, vcc_lo
	s_or_b32 vcc_lo, s6, s5
	s_delay_alu instid0(VALU_DEP_1) | instskip(SKIP_1) | instid1(VALU_DEP_2)
	v_cndmask_b32_e32 v34, v34, v72, vcc_lo
	v_cmp_o_f32_e32 vcc_lo, v75, v74
	v_cndmask_b32_e32 v44, 0x7fc00000, v34, vcc_lo
	s_delay_alu instid0(VALU_DEP_1) | instskip(NEXT) | instid1(VALU_DEP_1)
	v_cvt_f64_f32_e32 v[34:35], v44
	v_cmp_ngt_f64_e32 vcc_lo, s[50:51], v[34:35]
	v_cndmask_b32_e32 v34, 0x3c23d70a, v44, vcc_lo
	s_delay_alu instid0(VALU_DEP_1) | instskip(SKIP_2) | instid1(VALU_DEP_3)
	v_div_scale_f32 v35, null, v34, v34, v43
	v_div_scale_f32 v44, vcc_lo, v43, v34, v43
	v_fma_f32 v45, -v45, v50, v47
	v_rcp_f32_e32 v47, v35
	v_nop
	s_delay_alu instid0(TRANS32_DEP_1) | instskip(NEXT) | instid1(VALU_DEP_1)
	v_fma_f32 v51, -v35, v47, 1.0
	v_fmac_f32_e32 v47, v51, v47
	s_delay_alu instid0(VALU_DEP_1) | instskip(NEXT) | instid1(VALU_DEP_1)
	v_mul_f32_e32 v51, v44, v47
	v_fma_f32 v53, -v35, v51, v44
	s_delay_alu instid0(VALU_DEP_1) | instskip(NEXT) | instid1(VALU_DEP_1)
	v_fmac_f32_e32 v51, v53, v47
	v_fma_f32 v35, -v35, v51, v44
	s_delay_alu instid0(VALU_DEP_1) | instskip(SKIP_3) | instid1(VALU_DEP_2)
	v_div_fmas_f32 v35, v35, v47, v51
	s_mov_b32 vcc_lo, s0
	v_div_fmas_f32 v44, v45, v46, v50
	s_mov_b32 vcc_lo, s3
	v_div_fixup_f32 v43, v35, v34, v43
	v_div_fmas_f32 v45, v81, v77, v79
	s_mov_b32 vcc_lo, s2
	v_div_fmas_f32 v34, v52, v39, v76
	v_div_fixup_f32 v39, v44, v73, v42
	s_delay_alu instid0(VALU_DEP_3) | instskip(NEXT) | instid1(VALU_DEP_3)
	v_div_fixup_f32 v35, v45, v73, v41
	v_div_fixup_f32 v34, v34, 0x40400000, v40
	s_delay_alu instid0(VALU_DEP_3) | instskip(NEXT) | instid1(VALU_DEP_2)
	v_add_f32_e32 v39, v39, v43
	v_pk_mul_f32 v[30:31], v[34:35], v[30:31]
	v_pk_add_f32 v[36:37], v[36:37], v[34:35] op_sel_hi:[1,0] neg_lo:[0,1] neg_hi:[0,1]
	v_sub_f32_e32 v34, v38, v34
	s_delay_alu instid0(VALU_DEP_3) | instskip(NEXT) | instid1(VALU_DEP_3)
	v_sub_f32_e32 v35, v30, v31
	v_pk_fma_f32 v[30:31], v[6:7], v[36:37], v[58:59]
	s_delay_alu instid0(VALU_DEP_3) | instskip(NEXT) | instid1(VALU_DEP_3)
	v_fmac_f32_e32 v14, v13, v34
	v_div_scale_f32 v34, null, v73, v73, v35
	s_delay_alu instid0(VALU_DEP_3) | instskip(SKIP_1) | instid1(VALU_DEP_3)
	v_pk_fma_f32 v[12:13], v[12:13], v[48:49], v[30:31] op_sel:[1,0,0]
	v_div_scale_f32 v30, vcc_lo, v35, v73, v35
	v_rcp_f32_e32 v31, v34
	s_delay_alu instid0(VALU_DEP_2) | instskip(NEXT) | instid1(TRANS32_DEP_1)
	v_pk_mul_f32 v[12:13], v[12:13], v[28:29] op_sel_hi:[1,0]
	v_fma_f32 v43, -v34, v31, 1.0
	v_mul_f32_e32 v14, v28, v14
	s_delay_alu instid0(VALU_DEP_3) | instskip(NEXT) | instid1(VALU_DEP_4)
	v_div_scale_f32 v40, null, v73, v73, v12
	v_div_scale_f32 v37, null, v73, v73, v13
	s_delay_alu instid0(VALU_DEP_4) | instskip(NEXT) | instid1(VALU_DEP_4)
	v_fmac_f32_e32 v31, v43, v31
	v_div_scale_f32 v28, null, v73, v73, v14
	s_delay_alu instid0(VALU_DEP_4) | instskip(NEXT) | instid1(VALU_DEP_3)
	v_rcp_f32_e32 v45, v40
	v_rcp_f32_e32 v44, v37
	v_div_scale_f32 v36, s0, v14, v73, v14
	s_delay_alu instid0(VALU_DEP_2) | instskip(SKIP_1) | instid1(TRANS32_DEP_3)
	v_rcp_f32_e32 v42, v28
	v_div_scale_f32 v41, s2, v12, v73, v12
	v_fma_f32 v48, -v40, v45, 1.0
	s_delay_alu instid0(TRANS32_DEP_2) | instskip(SKIP_1) | instid1(TRANS32_DEP_1)
	v_fma_f32 v47, -v37, v44, 1.0
	v_div_scale_f32 v38, s1, v13, v73, v13
	v_fma_f32 v43, -v28, v42, 1.0
	s_delay_alu instid0(VALU_DEP_4) | instskip(NEXT) | instid1(VALU_DEP_4)
	v_dual_mul_f32 v46, v30, v31 :: v_dual_fmac_f32 v45, v48, v45
	v_fmac_f32_e32 v44, v47, v44
	s_delay_alu instid0(VALU_DEP_3) | instskip(NEXT) | instid1(VALU_DEP_3)
	v_fmac_f32_e32 v42, v43, v42
	v_fma_f32 v43, -v34, v46, v30
	s_delay_alu instid0(VALU_DEP_1) | instskip(NEXT) | instid1(VALU_DEP_4)
	v_dual_mul_f32 v47, v36, v42 :: v_dual_fmac_f32 v46, v43, v31
	v_dual_mul_f32 v43, v38, v44 :: v_dual_mul_f32 v48, v41, v45
	s_delay_alu instid0(VALU_DEP_2) | instskip(NEXT) | instid1(VALU_DEP_2)
	v_dual_fma_f32 v49, -v28, v47, v36 :: v_dual_fma_f32 v30, -v34, v46, v30
	v_dual_fma_f32 v50, -v40, v48, v41 :: v_dual_fma_f32 v34, -v37, v43, v38
	s_delay_alu instid0(VALU_DEP_2) | instskip(SKIP_1) | instid1(VALU_DEP_2)
	v_div_fmas_f32 v30, v30, v31, v46
	s_mov_b32 vcc_lo, s1
	v_dual_fmac_f32 v48, v50, v45 :: v_dual_fmac_f32 v47, v49, v42
	s_delay_alu instid0(VALU_DEP_3) | instskip(NEXT) | instid1(VALU_DEP_2)
	v_fmac_f32_e32 v43, v34, v44
	v_fma_f32 v34, -v40, v48, v41
	s_delay_alu instid0(VALU_DEP_3) | instskip(SKIP_1) | instid1(VALU_DEP_1)
	v_fma_f32 v31, -v28, v47, v36
	v_div_fixup_f32 v28, v30, v73, v35
	v_dual_fma_f32 v30, -v37, v43, v38 :: v_dual_add_f32 v28, v39, v28
	s_delay_alu instid0(VALU_DEP_1)
	v_div_fmas_f32 v35, v30, v44, v43
	s_mov_b32 vcc_lo, s2
	v_div_fmas_f32 v34, v34, v45, v48
	s_mov_b32 vcc_lo, s0
	v_pk_fma_f32 v[4:5], v[6:7], v[28:29], v[4:5] op_sel_hi:[1,0,1] neg_lo:[0,0,1] neg_hi:[0,0,1]
	v_div_fmas_f32 v36, v31, v42, v47
	v_pk_mul_f32 v[30:31], v[28:29], v[32:33]
	v_div_fixup_f32 v7, v35, v73, v13
	v_div_fixup_f32 v6, v34, v73, v12
	v_cmp_eq_u32_e32 vcc_lo, 0, v60
	v_div_fixup_f32 v12, v36, v73, v14
	v_sub_f32_e32 v13, v30, v31
	s_delay_alu instid0(VALU_DEP_4) | instskip(SKIP_1) | instid1(VALU_DEP_2)
	v_pk_add_f32 v[4:5], v[6:7], v[4:5]
	s_or_b32 s64, vcc_lo, s64
	v_add_f32_e32 v6, v12, v13
	s_delay_alu instid0(VALU_DEP_2) | instskip(NEXT) | instid1(VALU_DEP_2)
	v_pk_add_f32 v[24:25], v[24:25], v[4:5]
	v_add_f32_e32 v17, v17, v6
	s_and_not1_b32 exec_lo, exec_lo, s64
	s_cbranch_execnz .LBB0_11
; %bb.12:                               ;   in Loop: Header=BB0_9 Depth=1
	s_or_b32 exec_lo, exec_lo, s64
	v_cvt_f64_f32_e32 v[0:1], v24
	v_cvt_f64_f32_e32 v[2:3], v25
	;; [unrolled: 1-line block ×3, first 2 shown]
	s_branch .LBB0_8
.LBB0_13:
	s_sendmsg sendmsg(MSG_DEALLOC_VGPRS)
	s_endpgm
	.section	.rodata,"a",@progbits
	.p2align	6, 0x0
	.amdhsa_kernel _Z18bond_wlcpowallviscPdS_S_PK15HIP_vector_typeIfLj4EES3_PKiPKS0_IiLj2EEPKdPKfSC_SC_SC_SC_SC_SC_SC_S0_IfLj3EEiii
		.amdhsa_group_segment_fixed_size 0
		.amdhsa_private_segment_fixed_size 0
		.amdhsa_kernarg_size 408
		.amdhsa_user_sgpr_count 2
		.amdhsa_user_sgpr_dispatch_ptr 0
		.amdhsa_user_sgpr_queue_ptr 0
		.amdhsa_user_sgpr_kernarg_segment_ptr 1
		.amdhsa_user_sgpr_dispatch_id 0
		.amdhsa_user_sgpr_kernarg_preload_length 0
		.amdhsa_user_sgpr_kernarg_preload_offset 0
		.amdhsa_user_sgpr_private_segment_size 0
		.amdhsa_wavefront_size32 1
		.amdhsa_uses_dynamic_stack 0
		.amdhsa_enable_private_segment 0
		.amdhsa_system_sgpr_workgroup_id_x 1
		.amdhsa_system_sgpr_workgroup_id_y 0
		.amdhsa_system_sgpr_workgroup_id_z 0
		.amdhsa_system_sgpr_workgroup_info 0
		.amdhsa_system_vgpr_workitem_id 0
		.amdhsa_next_free_vgpr 99
		.amdhsa_next_free_sgpr 65
		.amdhsa_named_barrier_count 0
		.amdhsa_reserve_vcc 1
		.amdhsa_float_round_mode_32 0
		.amdhsa_float_round_mode_16_64 0
		.amdhsa_float_denorm_mode_32 3
		.amdhsa_float_denorm_mode_16_64 3
		.amdhsa_fp16_overflow 0
		.amdhsa_memory_ordered 1
		.amdhsa_forward_progress 1
		.amdhsa_inst_pref_size 123
		.amdhsa_round_robin_scheduling 0
		.amdhsa_exception_fp_ieee_invalid_op 0
		.amdhsa_exception_fp_denorm_src 0
		.amdhsa_exception_fp_ieee_div_zero 0
		.amdhsa_exception_fp_ieee_overflow 0
		.amdhsa_exception_fp_ieee_underflow 0
		.amdhsa_exception_fp_ieee_inexact 0
		.amdhsa_exception_int_div_zero 0
	.end_amdhsa_kernel
	.text
.Lfunc_end0:
	.size	_Z18bond_wlcpowallviscPdS_S_PK15HIP_vector_typeIfLj4EES3_PKiPKS0_IiLj2EEPKdPKfSC_SC_SC_SC_SC_SC_SC_S0_IfLj3EEiii, .Lfunc_end0-_Z18bond_wlcpowallviscPdS_S_PK15HIP_vector_typeIfLj4EES3_PKiPKS0_IiLj2EEPKdPKfSC_SC_SC_SC_SC_SC_SC_S0_IfLj3EEiii
                                        ; -- End function
	.set _Z18bond_wlcpowallviscPdS_S_PK15HIP_vector_typeIfLj4EES3_PKiPKS0_IiLj2EEPKdPKfSC_SC_SC_SC_SC_SC_SC_S0_IfLj3EEiii.num_vgpr, 99
	.set _Z18bond_wlcpowallviscPdS_S_PK15HIP_vector_typeIfLj4EES3_PKiPKS0_IiLj2EEPKdPKfSC_SC_SC_SC_SC_SC_SC_S0_IfLj3EEiii.num_agpr, 0
	.set _Z18bond_wlcpowallviscPdS_S_PK15HIP_vector_typeIfLj4EES3_PKiPKS0_IiLj2EEPKdPKfSC_SC_SC_SC_SC_SC_SC_S0_IfLj3EEiii.numbered_sgpr, 65
	.set _Z18bond_wlcpowallviscPdS_S_PK15HIP_vector_typeIfLj4EES3_PKiPKS0_IiLj2EEPKdPKfSC_SC_SC_SC_SC_SC_SC_S0_IfLj3EEiii.num_named_barrier, 0
	.set _Z18bond_wlcpowallviscPdS_S_PK15HIP_vector_typeIfLj4EES3_PKiPKS0_IiLj2EEPKdPKfSC_SC_SC_SC_SC_SC_SC_S0_IfLj3EEiii.private_seg_size, 0
	.set _Z18bond_wlcpowallviscPdS_S_PK15HIP_vector_typeIfLj4EES3_PKiPKS0_IiLj2EEPKdPKfSC_SC_SC_SC_SC_SC_SC_S0_IfLj3EEiii.uses_vcc, 1
	.set _Z18bond_wlcpowallviscPdS_S_PK15HIP_vector_typeIfLj4EES3_PKiPKS0_IiLj2EEPKdPKfSC_SC_SC_SC_SC_SC_SC_S0_IfLj3EEiii.uses_flat_scratch, 0
	.set _Z18bond_wlcpowallviscPdS_S_PK15HIP_vector_typeIfLj4EES3_PKiPKS0_IiLj2EEPKdPKfSC_SC_SC_SC_SC_SC_SC_S0_IfLj3EEiii.has_dyn_sized_stack, 0
	.set _Z18bond_wlcpowallviscPdS_S_PK15HIP_vector_typeIfLj4EES3_PKiPKS0_IiLj2EEPKdPKfSC_SC_SC_SC_SC_SC_SC_S0_IfLj3EEiii.has_recursion, 0
	.set _Z18bond_wlcpowallviscPdS_S_PK15HIP_vector_typeIfLj4EES3_PKiPKS0_IiLj2EEPKdPKfSC_SC_SC_SC_SC_SC_SC_S0_IfLj3EEiii.has_indirect_call, 0
	.section	.AMDGPU.csdata,"",@progbits
; Kernel info:
; codeLenInByte = 15712
; TotalNumSgprs: 67
; NumVgprs: 99
; ScratchSize: 0
; MemoryBound: 0
; FloatMode: 240
; IeeeMode: 1
; LDSByteSize: 0 bytes/workgroup (compile time only)
; SGPRBlocks: 0
; VGPRBlocks: 6
; NumSGPRsForWavesPerEU: 67
; NumVGPRsForWavesPerEU: 99
; NamedBarCnt: 0
; Occupancy: 9
; WaveLimiterHint : 1
; COMPUTE_PGM_RSRC2:SCRATCH_EN: 0
; COMPUTE_PGM_RSRC2:USER_SGPR: 2
; COMPUTE_PGM_RSRC2:TRAP_HANDLER: 0
; COMPUTE_PGM_RSRC2:TGID_X_EN: 1
; COMPUTE_PGM_RSRC2:TGID_Y_EN: 0
; COMPUTE_PGM_RSRC2:TGID_Z_EN: 0
; COMPUTE_PGM_RSRC2:TIDIG_COMP_CNT: 0
	.text
	.p2alignl 7, 3214868480
	.fill 96, 4, 3214868480
	.section	.AMDGPU.gpr_maximums,"",@progbits
	.set amdgpu.max_num_vgpr, 0
	.set amdgpu.max_num_agpr, 0
	.set amdgpu.max_num_sgpr, 0
	.text
	.type	__hip_cuid_eb6efe745e646194,@object ; @__hip_cuid_eb6efe745e646194
	.section	.bss,"aw",@nobits
	.globl	__hip_cuid_eb6efe745e646194
__hip_cuid_eb6efe745e646194:
	.byte	0                               ; 0x0
	.size	__hip_cuid_eb6efe745e646194, 1

	.ident	"AMD clang version 22.0.0git (https://github.com/RadeonOpenCompute/llvm-project roc-7.2.4 26084 f58b06dce1f9c15707c5f808fd002e18c2accf7e)"
	.section	".note.GNU-stack","",@progbits
	.addrsig
	.addrsig_sym __hip_cuid_eb6efe745e646194
	.amdgpu_metadata
---
amdhsa.kernels:
  - .args:
      - .address_space:  global
        .offset:         0
        .size:           8
        .value_kind:     global_buffer
      - .address_space:  global
        .offset:         8
        .size:           8
        .value_kind:     global_buffer
      - .address_space:  global
        .offset:         16
        .size:           8
        .value_kind:     global_buffer
      - .actual_access:  read_only
        .address_space:  global
        .offset:         24
        .size:           8
        .value_kind:     global_buffer
      - .actual_access:  read_only
        .address_space:  global
        .offset:         32
        .size:           8
        .value_kind:     global_buffer
      - .actual_access:  read_only
        .address_space:  global
        .offset:         40
        .size:           8
        .value_kind:     global_buffer
      - .actual_access:  read_only
        .address_space:  global
        .offset:         48
        .size:           8
        .value_kind:     global_buffer
      - .actual_access:  read_only
        .address_space:  global
        .offset:         56
        .size:           8
        .value_kind:     global_buffer
      - .actual_access:  read_only
        .address_space:  global
        .offset:         64
        .size:           8
        .value_kind:     global_buffer
      - .actual_access:  read_only
        .address_space:  global
        .offset:         72
        .size:           8
        .value_kind:     global_buffer
      - .actual_access:  read_only
        .address_space:  global
        .offset:         80
        .size:           8
        .value_kind:     global_buffer
      - .actual_access:  read_only
        .address_space:  global
        .offset:         88
        .size:           8
        .value_kind:     global_buffer
      - .actual_access:  read_only
        .address_space:  global
        .offset:         96
        .size:           8
        .value_kind:     global_buffer
      - .actual_access:  read_only
        .address_space:  global
        .offset:         104
        .size:           8
        .value_kind:     global_buffer
      - .actual_access:  read_only
        .address_space:  global
        .offset:         112
        .size:           8
        .value_kind:     global_buffer
      - .actual_access:  read_only
        .address_space:  global
        .offset:         120
        .size:           8
        .value_kind:     global_buffer
      - .offset:         128
        .size:           12
        .value_kind:     by_value
      - .offset:         140
        .size:           4
        .value_kind:     by_value
      - .offset:         144
        .size:           4
        .value_kind:     by_value
      - .offset:         148
        .size:           4
        .value_kind:     by_value
      - .offset:         152
        .size:           4
        .value_kind:     hidden_block_count_x
      - .offset:         156
        .size:           4
        .value_kind:     hidden_block_count_y
      - .offset:         160
        .size:           4
        .value_kind:     hidden_block_count_z
      - .offset:         164
        .size:           2
        .value_kind:     hidden_group_size_x
      - .offset:         166
        .size:           2
        .value_kind:     hidden_group_size_y
      - .offset:         168
        .size:           2
        .value_kind:     hidden_group_size_z
      - .offset:         170
        .size:           2
        .value_kind:     hidden_remainder_x
      - .offset:         172
        .size:           2
        .value_kind:     hidden_remainder_y
      - .offset:         174
        .size:           2
        .value_kind:     hidden_remainder_z
      - .offset:         192
        .size:           8
        .value_kind:     hidden_global_offset_x
      - .offset:         200
        .size:           8
        .value_kind:     hidden_global_offset_y
      - .offset:         208
        .size:           8
        .value_kind:     hidden_global_offset_z
      - .offset:         216
        .size:           2
        .value_kind:     hidden_grid_dims
      - .offset:         272
        .size:           4
        .value_kind:     hidden_dynamic_lds_size
    .group_segment_fixed_size: 0
    .kernarg_segment_align: 8
    .kernarg_segment_size: 408
    .language:       OpenCL C
    .language_version:
      - 2
      - 0
    .max_flat_workgroup_size: 1024
    .name:           _Z18bond_wlcpowallviscPdS_S_PK15HIP_vector_typeIfLj4EES3_PKiPKS0_IiLj2EEPKdPKfSC_SC_SC_SC_SC_SC_SC_S0_IfLj3EEiii
    .private_segment_fixed_size: 0
    .sgpr_count:     67
    .sgpr_spill_count: 0
    .symbol:         _Z18bond_wlcpowallviscPdS_S_PK15HIP_vector_typeIfLj4EES3_PKiPKS0_IiLj2EEPKdPKfSC_SC_SC_SC_SC_SC_SC_S0_IfLj3EEiii.kd
    .uniform_work_group_size: 1
    .uses_dynamic_stack: false
    .vgpr_count:     99
    .vgpr_spill_count: 0
    .wavefront_size: 32
amdhsa.target:   amdgcn-amd-amdhsa--gfx1250
amdhsa.version:
  - 1
  - 2
...

	.end_amdgpu_metadata
